;; amdgpu-corpus repo=ROCm/rocFFT kind=compiled arch=gfx906 opt=O3
	.text
	.amdgcn_target "amdgcn-amd-amdhsa--gfx906"
	.amdhsa_code_object_version 6
	.protected	fft_rtc_back_len1260_factors_2_2_3_3_5_7_wgs_63_tpt_63_halfLds_sp_op_CI_CI_unitstride_sbrr_dirReg ; -- Begin function fft_rtc_back_len1260_factors_2_2_3_3_5_7_wgs_63_tpt_63_halfLds_sp_op_CI_CI_unitstride_sbrr_dirReg
	.globl	fft_rtc_back_len1260_factors_2_2_3_3_5_7_wgs_63_tpt_63_halfLds_sp_op_CI_CI_unitstride_sbrr_dirReg
	.p2align	8
	.type	fft_rtc_back_len1260_factors_2_2_3_3_5_7_wgs_63_tpt_63_halfLds_sp_op_CI_CI_unitstride_sbrr_dirReg,@function
fft_rtc_back_len1260_factors_2_2_3_3_5_7_wgs_63_tpt_63_halfLds_sp_op_CI_CI_unitstride_sbrr_dirReg: ; @fft_rtc_back_len1260_factors_2_2_3_3_5_7_wgs_63_tpt_63_halfLds_sp_op_CI_CI_unitstride_sbrr_dirReg
; %bb.0:
	s_load_dwordx4 s[12:15], s[4:5], 0x58
	s_load_dwordx4 s[8:11], s[4:5], 0x0
	;; [unrolled: 1-line block ×3, first 2 shown]
	v_mul_u32_u24_e32 v1, 0x411, v0
	v_mov_b32_e32 v7, 0
	v_mov_b32_e32 v5, 0
	s_waitcnt lgkmcnt(0)
	v_cmp_lt_u64_e64 s[0:1], s[10:11], 2
	v_add_u32_sdwa v9, s6, v1 dst_sel:DWORD dst_unused:UNUSED_PAD src0_sel:DWORD src1_sel:WORD_1
	v_mov_b32_e32 v10, v7
	s_and_b64 vcc, exec, s[0:1]
	v_mov_b32_e32 v6, 0
	s_cbranch_vccnz .LBB0_8
; %bb.1:
	s_load_dwordx2 s[0:1], s[4:5], 0x10
	s_add_u32 s2, s18, 8
	s_addc_u32 s3, s19, 0
	s_add_u32 s6, s16, 8
	s_addc_u32 s7, s17, 0
	v_mov_b32_e32 v5, 0
	s_waitcnt lgkmcnt(0)
	s_add_u32 s20, s0, 8
	v_mov_b32_e32 v6, 0
	v_mov_b32_e32 v1, v5
	s_addc_u32 s21, s1, 0
	s_mov_b64 s[22:23], 1
	v_mov_b32_e32 v2, v6
.LBB0_2:                                ; =>This Inner Loop Header: Depth=1
	s_load_dwordx2 s[24:25], s[20:21], 0x0
                                        ; implicit-def: $vgpr3_vgpr4
	s_waitcnt lgkmcnt(0)
	v_or_b32_e32 v8, s25, v10
	v_cmp_ne_u64_e32 vcc, 0, v[7:8]
	s_and_saveexec_b64 s[0:1], vcc
	s_xor_b64 s[26:27], exec, s[0:1]
	s_cbranch_execz .LBB0_4
; %bb.3:                                ;   in Loop: Header=BB0_2 Depth=1
	v_cvt_f32_u32_e32 v3, s24
	v_cvt_f32_u32_e32 v4, s25
	s_sub_u32 s0, 0, s24
	s_subb_u32 s1, 0, s25
	v_mac_f32_e32 v3, 0x4f800000, v4
	v_rcp_f32_e32 v3, v3
	v_mul_f32_e32 v3, 0x5f7ffffc, v3
	v_mul_f32_e32 v4, 0x2f800000, v3
	v_trunc_f32_e32 v4, v4
	v_mac_f32_e32 v3, 0xcf800000, v4
	v_cvt_u32_f32_e32 v4, v4
	v_cvt_u32_f32_e32 v3, v3
	v_mul_lo_u32 v8, s0, v4
	v_mul_hi_u32 v11, s0, v3
	v_mul_lo_u32 v13, s1, v3
	v_mul_lo_u32 v12, s0, v3
	v_add_u32_e32 v8, v11, v8
	v_add_u32_e32 v8, v8, v13
	v_mul_hi_u32 v11, v3, v12
	v_mul_lo_u32 v13, v3, v8
	v_mul_hi_u32 v15, v3, v8
	v_mul_hi_u32 v14, v4, v12
	v_mul_lo_u32 v12, v4, v12
	v_mul_hi_u32 v16, v4, v8
	v_add_co_u32_e32 v11, vcc, v11, v13
	v_addc_co_u32_e32 v13, vcc, 0, v15, vcc
	v_mul_lo_u32 v8, v4, v8
	v_add_co_u32_e32 v11, vcc, v11, v12
	v_addc_co_u32_e32 v11, vcc, v13, v14, vcc
	v_addc_co_u32_e32 v12, vcc, 0, v16, vcc
	v_add_co_u32_e32 v8, vcc, v11, v8
	v_addc_co_u32_e32 v11, vcc, 0, v12, vcc
	v_add_co_u32_e32 v3, vcc, v3, v8
	v_addc_co_u32_e32 v4, vcc, v4, v11, vcc
	v_mul_lo_u32 v8, s0, v4
	v_mul_hi_u32 v11, s0, v3
	v_mul_lo_u32 v12, s1, v3
	v_mul_lo_u32 v13, s0, v3
	v_add_u32_e32 v8, v11, v8
	v_add_u32_e32 v8, v8, v12
	v_mul_lo_u32 v14, v3, v8
	v_mul_hi_u32 v15, v3, v13
	v_mul_hi_u32 v16, v3, v8
	v_mul_hi_u32 v12, v4, v13
	v_mul_lo_u32 v13, v4, v13
	v_mul_hi_u32 v11, v4, v8
	v_add_co_u32_e32 v14, vcc, v15, v14
	v_addc_co_u32_e32 v15, vcc, 0, v16, vcc
	v_mul_lo_u32 v8, v4, v8
	v_add_co_u32_e32 v13, vcc, v14, v13
	v_addc_co_u32_e32 v12, vcc, v15, v12, vcc
	v_addc_co_u32_e32 v11, vcc, 0, v11, vcc
	v_add_co_u32_e32 v8, vcc, v12, v8
	v_addc_co_u32_e32 v11, vcc, 0, v11, vcc
	v_add_co_u32_e32 v8, vcc, v3, v8
	v_addc_co_u32_e32 v11, vcc, v4, v11, vcc
	v_mad_u64_u32 v[3:4], s[0:1], v9, v11, 0
	v_mul_hi_u32 v12, v9, v8
	v_add_co_u32_e32 v13, vcc, v12, v3
	v_addc_co_u32_e32 v14, vcc, 0, v4, vcc
	v_mad_u64_u32 v[3:4], s[0:1], v10, v8, 0
	v_mad_u64_u32 v[11:12], s[0:1], v10, v11, 0
	v_add_co_u32_e32 v3, vcc, v13, v3
	v_addc_co_u32_e32 v3, vcc, v14, v4, vcc
	v_addc_co_u32_e32 v4, vcc, 0, v12, vcc
	v_add_co_u32_e32 v8, vcc, v3, v11
	v_addc_co_u32_e32 v11, vcc, 0, v4, vcc
	v_mul_lo_u32 v12, s25, v8
	v_mul_lo_u32 v13, s24, v11
	v_mad_u64_u32 v[3:4], s[0:1], s24, v8, 0
	v_add3_u32 v4, v4, v13, v12
	v_sub_u32_e32 v12, v10, v4
	v_mov_b32_e32 v13, s25
	v_sub_co_u32_e32 v3, vcc, v9, v3
	v_subb_co_u32_e64 v12, s[0:1], v12, v13, vcc
	v_subrev_co_u32_e64 v13, s[0:1], s24, v3
	v_subbrev_co_u32_e64 v12, s[0:1], 0, v12, s[0:1]
	v_cmp_le_u32_e64 s[0:1], s25, v12
	v_cndmask_b32_e64 v14, 0, -1, s[0:1]
	v_cmp_le_u32_e64 s[0:1], s24, v13
	v_cndmask_b32_e64 v13, 0, -1, s[0:1]
	v_cmp_eq_u32_e64 s[0:1], s25, v12
	v_cndmask_b32_e64 v12, v14, v13, s[0:1]
	v_add_co_u32_e64 v13, s[0:1], 2, v8
	v_addc_co_u32_e64 v14, s[0:1], 0, v11, s[0:1]
	v_add_co_u32_e64 v15, s[0:1], 1, v8
	v_addc_co_u32_e64 v16, s[0:1], 0, v11, s[0:1]
	v_subb_co_u32_e32 v4, vcc, v10, v4, vcc
	v_cmp_ne_u32_e64 s[0:1], 0, v12
	v_cmp_le_u32_e32 vcc, s25, v4
	v_cndmask_b32_e64 v12, v16, v14, s[0:1]
	v_cndmask_b32_e64 v14, 0, -1, vcc
	v_cmp_le_u32_e32 vcc, s24, v3
	v_cndmask_b32_e64 v3, 0, -1, vcc
	v_cmp_eq_u32_e32 vcc, s25, v4
	v_cndmask_b32_e32 v3, v14, v3, vcc
	v_cmp_ne_u32_e32 vcc, 0, v3
	v_cndmask_b32_e64 v3, v15, v13, s[0:1]
	v_cndmask_b32_e32 v4, v11, v12, vcc
	v_cndmask_b32_e32 v3, v8, v3, vcc
.LBB0_4:                                ;   in Loop: Header=BB0_2 Depth=1
	s_andn2_saveexec_b64 s[0:1], s[26:27]
	s_cbranch_execz .LBB0_6
; %bb.5:                                ;   in Loop: Header=BB0_2 Depth=1
	v_cvt_f32_u32_e32 v3, s24
	s_sub_i32 s26, 0, s24
	v_rcp_iflag_f32_e32 v3, v3
	v_mul_f32_e32 v3, 0x4f7ffffe, v3
	v_cvt_u32_f32_e32 v3, v3
	v_mul_lo_u32 v4, s26, v3
	v_mul_hi_u32 v4, v3, v4
	v_add_u32_e32 v3, v3, v4
	v_mul_hi_u32 v3, v9, v3
	v_mul_lo_u32 v4, v3, s24
	v_add_u32_e32 v8, 1, v3
	v_sub_u32_e32 v4, v9, v4
	v_subrev_u32_e32 v11, s24, v4
	v_cmp_le_u32_e32 vcc, s24, v4
	v_cndmask_b32_e32 v4, v4, v11, vcc
	v_cndmask_b32_e32 v3, v3, v8, vcc
	v_add_u32_e32 v8, 1, v3
	v_cmp_le_u32_e32 vcc, s24, v4
	v_cndmask_b32_e32 v3, v3, v8, vcc
	v_mov_b32_e32 v4, v7
.LBB0_6:                                ;   in Loop: Header=BB0_2 Depth=1
	s_or_b64 exec, exec, s[0:1]
	v_mul_lo_u32 v8, v4, s24
	v_mul_lo_u32 v13, v3, s25
	v_mad_u64_u32 v[11:12], s[0:1], v3, s24, 0
	s_load_dwordx2 s[0:1], s[6:7], 0x0
	s_load_dwordx2 s[24:25], s[2:3], 0x0
	v_add3_u32 v8, v12, v13, v8
	v_sub_co_u32_e32 v9, vcc, v9, v11
	v_subb_co_u32_e32 v8, vcc, v10, v8, vcc
	s_waitcnt lgkmcnt(0)
	v_mul_lo_u32 v10, s0, v8
	v_mul_lo_u32 v11, s1, v9
	v_mad_u64_u32 v[5:6], s[0:1], s0, v9, v[5:6]
	v_mul_lo_u32 v8, s24, v8
	v_mul_lo_u32 v12, s25, v9
	v_mad_u64_u32 v[1:2], s[0:1], s24, v9, v[1:2]
	s_add_u32 s22, s22, 1
	s_addc_u32 s23, s23, 0
	s_add_u32 s2, s2, 8
	v_add3_u32 v2, v12, v2, v8
	s_addc_u32 s3, s3, 0
	v_mov_b32_e32 v8, s10
	s_add_u32 s6, s6, 8
	v_mov_b32_e32 v9, s11
	s_addc_u32 s7, s7, 0
	v_cmp_ge_u64_e32 vcc, s[22:23], v[8:9]
	s_add_u32 s20, s20, 8
	v_add3_u32 v6, v11, v6, v10
	s_addc_u32 s21, s21, 0
	s_cbranch_vccnz .LBB0_9
; %bb.7:                                ;   in Loop: Header=BB0_2 Depth=1
	v_mov_b32_e32 v10, v4
	v_mov_b32_e32 v9, v3
	s_branch .LBB0_2
.LBB0_8:
	v_mov_b32_e32 v1, v5
	v_mov_b32_e32 v3, v9
	;; [unrolled: 1-line block ×4, first 2 shown]
.LBB0_9:
	s_load_dwordx2 s[4:5], s[4:5], 0x28
	s_lshl_b64 s[6:7], s[10:11], 3
	s_add_u32 s2, s18, s6
	s_addc_u32 s3, s19, s7
                                        ; implicit-def: $sgpr10_sgpr11
                                        ; implicit-def: $vgpr63
	s_waitcnt lgkmcnt(0)
	v_cmp_gt_u64_e64 s[0:1], s[4:5], v[3:4]
	v_cmp_le_u64_e32 vcc, s[4:5], v[3:4]
	s_and_saveexec_b64 s[4:5], vcc
	s_xor_b64 s[4:5], exec, s[4:5]
; %bb.10:
	s_mov_b32 s10, 0x4104105
	v_mul_hi_u32 v5, v0, s10
	s_mov_b64 s[10:11], 0
	v_mul_u32_u24_e32 v5, 63, v5
	v_sub_u32_e32 v63, v0, v5
                                        ; implicit-def: $vgpr0
                                        ; implicit-def: $vgpr5_vgpr6
; %bb.11:
	s_or_saveexec_b64 s[4:5], s[4:5]
	v_mov_b32_e32 v7, s10
	v_mov_b32_e32 v35, s11
	;; [unrolled: 1-line block ×20, first 2 shown]
                                        ; implicit-def: $vgpr17
                                        ; implicit-def: $vgpr11
                                        ; implicit-def: $vgpr13
                                        ; implicit-def: $vgpr15
                                        ; implicit-def: $vgpr25
                                        ; implicit-def: $vgpr21
                                        ; implicit-def: $vgpr27
                                        ; implicit-def: $vgpr29
                                        ; implicit-def: $vgpr23
                                        ; implicit-def: $vgpr49
	s_xor_b64 exec, exec, s[4:5]
	s_cbranch_execz .LBB0_13
; %bb.12:
	s_add_u32 s6, s16, s6
	s_addc_u32 s7, s17, s7
	s_load_dwordx2 s[6:7], s[6:7], 0x0
	s_mov_b32 s10, 0x4104105
	v_mul_hi_u32 v9, v0, s10
	v_lshlrev_b64 v[5:6], 3, v[5:6]
	s_waitcnt lgkmcnt(0)
	v_mul_lo_u32 v10, s7, v3
	v_mul_lo_u32 v11, s6, v4
	v_mad_u64_u32 v[7:8], s[6:7], s6, v3, 0
	v_mul_u32_u24_e32 v9, 63, v9
	v_sub_u32_e32 v63, v0, v9
	v_add3_u32 v8, v8, v11, v10
	v_lshlrev_b64 v[7:8], 3, v[7:8]
	v_mov_b32_e32 v0, s13
	v_add_co_u32_e32 v7, vcc, s12, v7
	v_addc_co_u32_e32 v0, vcc, v0, v8, vcc
	v_add_co_u32_e32 v5, vcc, v7, v5
	v_addc_co_u32_e32 v0, vcc, v0, v6, vcc
	v_lshlrev_b32_e32 v6, 3, v63
	v_add_co_u32_e32 v5, vcc, v5, v6
	v_addc_co_u32_e32 v6, vcc, 0, v0, vcc
	s_movk_i32 s6, 0x1000
	v_add_co_u32_e32 v18, vcc, s6, v5
	v_addc_co_u32_e32 v19, vcc, 0, v6, vcc
	global_load_dwordx2 v[7:8], v[5:6], off
	global_load_dwordx2 v[34:35], v[5:6], off offset:504
	global_load_dwordx2 v[30:31], v[5:6], off offset:1008
	;; [unrolled: 1-line block ×11, first 2 shown]
	v_add_co_u32_e32 v50, vcc, 0x2000, v5
	v_addc_co_u32_e32 v51, vcc, 0, v6, vcc
	global_load_dwordx2 v[44:45], v[5:6], off offset:4032
	global_load_dwordx2 v[48:49], v[18:19], off offset:1448
	;; [unrolled: 1-line block ×8, first 2 shown]
.LBB0_13:
	s_or_b64 exec, exec, s[4:5]
	s_waitcnt vmcnt(5)
	v_sub_f32_e32 v6, v7, v16
	v_fma_f32 v5, v7, 2.0, -v6
	v_lshl_add_u32 v16, v63, 3, 0
	ds_write_b64 v16, v[5:6]
	v_sub_f32_e32 v6, v30, v22
	v_add_u32_e32 v64, 0x7e, v63
	v_fma_f32 v5, v30, 2.0, -v6
	v_lshl_add_u32 v30, v64, 3, 0
	ds_write_b64 v30, v[5:6]
	v_sub_f32_e32 v6, v32, v10
	v_add_u32_e32 v66, 0xbd, v63
	;; [unrolled: 5-line block ×4, first 2 shown]
	v_fma_f32 v5, v40, 2.0, -v6
	v_lshl_add_u32 v14, v68, 3, 0
	ds_write_b64 v14, v[5:6]
	s_waitcnt vmcnt(3)
	v_sub_f32_e32 v6, v36, v28
	v_add_u32_e32 v67, 0x17a, v63
	v_fma_f32 v5, v36, 2.0, -v6
	v_lshl_add_u32 v28, v67, 3, 0
	ds_write_b64 v28, v[5:6]
	s_waitcnt vmcnt(2)
	v_sub_f32_e32 v6, v38, v24
	v_add_u32_e32 v24, 0x1b9, v63
	v_fma_f32 v5, v38, 2.0, -v6
	v_lshl_add_u32 v38, v24, 3, 0
	ds_write_b64 v38, v[5:6]
	s_waitcnt vmcnt(1)
	v_sub_f32_e32 v6, v44, v26
	v_add_u32_e32 v70, 0x1f8, v63
	v_sub_f32_e32 v51, v8, v17
	v_fma_f32 v5, v44, 2.0, -v6
	v_lshl_add_u32 v26, v70, 3, 0
	v_fma_f32 v50, v8, 2.0, -v51
	v_sub_f32_e32 v8, v34, v48
	v_add_u32_e32 v0, 63, v63
	ds_write_b64 v26, v[5:6]
	s_waitcnt vmcnt(0)
	v_sub_f32_e32 v6, v46, v20
	v_add_u32_e32 v92, 0x237, v63
	v_sub_f32_e32 v12, v33, v11
	v_fma_f32 v7, v34, 2.0, -v8
	v_lshl_add_u32 v34, v0, 3, 0
	v_fma_f32 v5, v46, 2.0, -v6
	v_lshl_add_u32 v40, v92, 3, 0
	v_lshl_add_u32 v65, v63, 2, 0
	v_fma_f32 v11, v33, 2.0, -v12
	ds_write_b64 v34, v[7:8]
	ds_write_b64 v40, v[5:6]
	s_load_dwordx2 s[2:3], s[2:3], 0x0
	s_waitcnt lgkmcnt(0)
	; wave barrier
	s_waitcnt lgkmcnt(0)
	v_add_u32_e32 v71, 0x800, v65
	v_add_u32_e32 v44, 0xa00, v65
	;; [unrolled: 1-line block ×8, first 2 shown]
	ds_read2_b32 v[77:78], v65 offset1:63
	ds_read2_b32 v[19:20], v71 offset0:118 offset1:181
	ds_read2_b32 v[84:85], v65 offset0:126 offset1:189
	;; [unrolled: 1-line block ×9, first 2 shown]
	s_waitcnt lgkmcnt(0)
	; wave barrier
	s_waitcnt lgkmcnt(0)
	ds_write_b64 v32, v[11:12]
	v_sub_f32_e32 v12, v43, v13
	v_fma_f32 v11, v43, 2.0, -v12
	ds_write_b64 v42, v[11:12]
	v_sub_f32_e32 v12, v41, v15
	v_fma_f32 v11, v41, 2.0, -v12
	;; [unrolled: 3-line block ×6, first 2 shown]
	v_sub_f32_e32 v36, v35, v49
	v_sub_f32_e32 v23, v31, v23
	ds_write_b64 v40, v[11:12]
	v_and_b32_e32 v11, 1, v63
	v_fma_f32 v35, v35, 2.0, -v36
	v_fma_f32 v22, v31, 2.0, -v23
	v_lshlrev_b32_e32 v12, 3, v11
	ds_write_b64 v16, v[50:51]
	ds_write_b64 v34, v[35:36]
	ds_write_b64 v30, v[22:23]
	s_waitcnt lgkmcnt(0)
	; wave barrier
	s_waitcnt lgkmcnt(0)
	global_load_dwordx2 v[25:26], v12, s[8:9]
	v_and_b32_e32 v14, 1, v92
	v_and_b32_e32 v12, 1, v0
	v_lshlrev_b32_e32 v15, 3, v14
	v_lshlrev_b32_e32 v13, 3, v12
	global_load_dword v79, v15, s[8:9] offset:4
	global_load_dwordx2 v[37:38], v15, s[8:9]
	global_load_dword v80, v13, s[8:9]
	v_and_b32_e32 v13, 1, v66
	v_lshlrev_b32_e32 v15, 3, v13
	global_load_dwordx2 v[51:52], v15, s[8:9]
	v_and_b32_e32 v15, 1, v68
	v_lshlrev_b32_e32 v16, 3, v15
	global_load_dwordx2 v[49:50], v16, s[8:9]
	;; [unrolled: 3-line block ×3, first 2 shown]
	ds_read2_b32 v[57:58], v71 offset0:118 offset1:181
	s_movk_i32 s4, 0x7c
	v_lshlrev_b32_e32 v22, 1, v63
	v_and_or_b32 v22, v22, s4, v11
	v_lshl_add_u32 v81, v22, 2, 0
	ds_read2_b32 v[59:60], v44 offset0:116 offset1:179
	ds_read2_b32 v[35:36], v46 offset0:120 offset1:183
	ds_read2_b32 v[45:46], v65 offset1:63
	ds_read2_b32 v[43:44], v65 offset0:126 offset1:189
	ds_read2_b32 v[41:42], v72 offset0:124 offset1:187
	;; [unrolled: 1-line block ×6, first 2 shown]
	s_waitcnt lgkmcnt(0)
	; wave barrier
	s_waitcnt lgkmcnt(0)
	s_movk_i32 s4, 0xfc
	v_lshlrev_b32_e32 v23, 1, v0
	v_and_or_b32 v12, v23, s4, v12
	v_lshl_add_u32 v82, v12, 2, 0
	s_movk_i32 s4, 0x1fc
	s_movk_i32 s5, 0x2fc
	v_cmp_gt_u32_e32 vcc, 42, v63
	s_waitcnt vmcnt(6)
	v_mul_f32_e32 v21, v57, v26
	v_fmac_f32_e32 v21, v19, v25
	v_sub_f32_e32 v21, v77, v21
	v_fma_f32 v22, v77, 2.0, -v21
	ds_write2_b32 v81, v22, v21 offset1:2
	s_waitcnt vmcnt(4)
	v_mul_f32_e32 v21, v58, v38
	s_waitcnt vmcnt(3)
	v_fmac_f32_e32 v21, v20, v80
	v_sub_f32_e32 v21, v78, v21
	v_fma_f32 v22, v78, 2.0, -v21
	v_mul_f32_e32 v12, v59, v26
	ds_write2_b32 v82, v22, v21 offset1:2
	v_fmac_f32_e32 v12, v17, v25
	v_lshlrev_b32_e32 v21, 1, v64
	v_sub_f32_e32 v12, v84, v12
	v_and_or_b32 v21, v21, s4, v11
	v_lshl_add_u32 v83, v21, 2, 0
	v_fma_f32 v21, v84, 2.0, -v12
	ds_write2_b32 v83, v21, v12 offset1:2
	s_waitcnt vmcnt(2)
	v_mul_f32_e32 v12, v60, v52
	v_fmac_f32_e32 v12, v18, v51
	v_lshlrev_b32_e32 v22, 1, v66
	v_sub_f32_e32 v12, v85, v12
	v_and_or_b32 v13, v22, s4, v13
	v_fma_f32 v21, v85, 2.0, -v12
	v_lshl_add_u32 v84, v13, 2, 0
	ds_write2_b32 v84, v21, v12 offset1:2
	v_mul_f32_e32 v12, v61, v26
	v_fmac_f32_e32 v12, v9, v25
	s_movk_i32 s4, 0x3fc
	v_lshlrev_b32_e32 v13, 1, v69
	v_sub_f32_e32 v12, v86, v12
	v_and_or_b32 v13, v13, s4, v11
	v_lshl_add_u32 v85, v13, 2, 0
	v_fma_f32 v13, v86, 2.0, -v12
	ds_write2_b32 v85, v13, v12 offset1:2
	s_waitcnt vmcnt(1)
	v_mul_f32_e32 v12, v62, v50
	v_fmac_f32_e32 v12, v10, v49
	v_lshlrev_b32_e32 v21, 1, v68
	v_sub_f32_e32 v12, v87, v12
	v_and_or_b32 v15, v21, s5, v15
	v_fma_f32 v13, v87, 2.0, -v12
	v_lshl_add_u32 v86, v15, 2, 0
	ds_write2_b32 v86, v13, v12 offset1:2
	v_mul_f32_e32 v12, v55, v26
	v_fmac_f32_e32 v12, v7, v25
	v_lshlrev_b32_e32 v13, 1, v67
	v_sub_f32_e32 v12, v88, v12
	v_and_or_b32 v13, v13, s4, v11
	v_lshl_add_u32 v87, v13, 2, 0
	v_fma_f32 v13, v88, 2.0, -v12
	ds_write2_b32 v87, v13, v12 offset1:2
	s_waitcnt vmcnt(0)
	v_mul_f32_e32 v12, v56, v48
	v_fmac_f32_e32 v12, v8, v47
	v_lshlrev_b32_e32 v15, 1, v24
	v_sub_f32_e32 v12, v89, v12
	v_and_or_b32 v15, v15, s4, v16
	v_fma_f32 v13, v89, 2.0, -v12
	v_lshl_add_u32 v88, v15, 2, 0
	ds_write2_b32 v88, v13, v12 offset1:2
	v_lshlrev_b32_e32 v12, 1, v70
	s_movk_i32 s4, 0x7fc
	v_and_or_b32 v11, v12, s4, v11
	v_mul_f32_e32 v12, v53, v26
	v_fmac_f32_e32 v12, v5, v25
	v_sub_f32_e32 v12, v90, v12
	v_lshl_add_u32 v89, v11, 2, 0
	v_fma_f32 v11, v90, 2.0, -v12
	ds_write2_b32 v89, v11, v12 offset1:2
	v_mul_f32_e32 v11, v54, v79
	v_fmac_f32_e32 v11, v6, v37
	v_sub_f32_e32 v77, v91, v11
	v_lshlrev_b32_e32 v11, 1, v92
	s_movk_i32 s4, 0x4fc
	v_and_or_b32 v11, v11, s4, v14
	v_fma_f32 v70, v91, 2.0, -v77
	v_lshl_add_u32 v90, v11, 2, 0
	ds_write2_b32 v90, v70, v77 offset1:2
	s_waitcnt lgkmcnt(0)
	; wave barrier
	s_waitcnt lgkmcnt(0)
	ds_read2_b32 v[15:16], v65 offset1:63
	ds_read2_b32 v[33:34], v76 offset0:164 offset1:227
	ds_read2_b32 v[31:32], v73 offset0:72 offset1:135
	;; [unrolled: 1-line block ×8, first 2 shown]
                                        ; implicit-def: $vgpr78
	s_and_saveexec_b64 s[4:5], vcc
	s_cbranch_execz .LBB0_15
; %bb.14:
	ds_read_b32 v70, v65 offset:1512
	ds_read_b32 v77, v65 offset:3192
	;; [unrolled: 1-line block ×3, first 2 shown]
.LBB0_15:
	s_or_b64 exec, exec, s[4:5]
	v_mul_f32_e32 v19, v19, v26
	v_mul_f32_e32 v20, v20, v38
	;; [unrolled: 1-line block ×7, first 2 shown]
	v_fma_f32 v19, v57, v25, -v19
	v_fma_f32 v20, v58, v80, -v20
	v_fma_f32 v17, v59, v25, -v17
	v_fma_f32 v18, v60, v51, -v18
	v_mul_f32_e32 v9, v9, v26
	v_mul_f32_e32 v10, v10, v50
	v_fma_f32 v7, v55, v25, -v7
	v_fma_f32 v8, v56, v47, -v8
	;; [unrolled: 1-line block ×3, first 2 shown]
	v_mul_f32_e32 v6, v6, v79
	v_fma_f32 v9, v61, v25, -v9
	v_fma_f32 v10, v62, v49, -v10
	;; [unrolled: 1-line block ×3, first 2 shown]
	v_sub_f32_e32 v19, v45, v19
	v_sub_f32_e32 v20, v46, v20
	;; [unrolled: 1-line block ×7, first 2 shown]
	v_fma_f32 v25, v45, 2.0, -v19
	v_fma_f32 v26, v46, 2.0, -v20
	;; [unrolled: 1-line block ×4, first 2 shown]
	v_sub_f32_e32 v9, v41, v9
	v_sub_f32_e32 v10, v42, v10
	v_fma_f32 v39, v39, 2.0, -v7
	v_fma_f32 v40, v40, 2.0, -v8
	;; [unrolled: 1-line block ×3, first 2 shown]
	v_sub_f32_e32 v44, v36, v6
	v_fma_f32 v41, v41, 2.0, -v9
	v_fma_f32 v42, v42, 2.0, -v10
	;; [unrolled: 1-line block ×3, first 2 shown]
	s_waitcnt lgkmcnt(0)
	; wave barrier
	s_waitcnt lgkmcnt(0)
	ds_write2_b32 v81, v25, v19 offset1:2
	ds_write2_b32 v82, v26, v20 offset1:2
	;; [unrolled: 1-line block ×10, first 2 shown]
	s_waitcnt lgkmcnt(0)
	; wave barrier
	s_waitcnt lgkmcnt(0)
	ds_read2_b32 v[9:10], v65 offset1:63
	ds_read2_b32 v[39:40], v76 offset0:164 offset1:227
	ds_read2_b32 v[37:38], v73 offset0:72 offset1:135
	;; [unrolled: 1-line block ×8, first 2 shown]
                                        ; implicit-def: $vgpr46
	s_and_saveexec_b64 s[4:5], vcc
	s_cbranch_execz .LBB0_17
; %bb.16:
	ds_read_b32 v43, v65 offset:1512
	ds_read_b32 v44, v65 offset:3192
	;; [unrolled: 1-line block ×3, first 2 shown]
.LBB0_17:
	s_or_b64 exec, exec, s[4:5]
	v_and_b32_e32 v91, 3, v63
	v_and_b32_e32 v92, 3, v68
	v_lshlrev_b32_e32 v41, 4, v91
	v_lshlrev_b32_e32 v42, 4, v92
	global_load_dwordx4 v[71:74], v41, s[8:9] offset:16
	global_load_dwordx2 v[61:62], v42, s[8:9] offset:16
	v_and_b32_e32 v41, 3, v67
	v_and_b32_e32 v93, 3, v66
	v_lshlrev_b32_e32 v45, 4, v41
	v_lshlrev_b32_e32 v47, 4, v93
	v_and_b32_e32 v94, 3, v0
	global_load_dwordx2 v[75:76], v42, s[8:9] offset:24
	global_load_dwordx2 v[83:84], v45, s[8:9] offset:16
	global_load_dwordx2 v[85:86], v45, s[8:9] offset:24
	global_load_dwordx4 v[79:82], v47, s[8:9] offset:16
	global_load_dwordx2 v[87:88], v42, s[8:9] offset:20
	global_load_dword v59, v42, s[8:9] offset:28
	global_load_dwordx2 v[89:90], v45, s[8:9] offset:20
	global_load_dword v60, v45, s[8:9] offset:28
	v_lshlrev_b32_e32 v42, 4, v94
	global_load_dword v95, v42, s[8:9] offset:16
	v_and_b32_e32 v96, 3, v64
	v_lshlrev_b32_e32 v42, 4, v96
	global_load_dword v97, v42, s[8:9] offset:16
	s_waitcnt lgkmcnt(0)
	; wave barrier
	s_waitcnt vmcnt(11) lgkmcnt(0)
	v_mul_f32_e32 v57, v39, v72
	v_mul_f32_e32 v58, v37, v74
	v_fmac_f32_e32 v57, v33, v71
	v_fmac_f32_e32 v58, v31, v73
	v_mul_f32_e32 v98, v33, v72
	v_mul_f32_e32 v99, v31, v74
	s_waitcnt vmcnt(10)
	v_mul_f32_e32 v55, v40, v62
	s_waitcnt vmcnt(5)
	v_mul_f32_e32 v45, v20, v87
	v_mul_f32_e32 v87, v24, v87
	;; [unrolled: 1-line block ×5, first 2 shown]
	v_fma_f32 v31, v20, v61, -v87
	v_add_f32_e32 v20, v57, v58
	v_mul_f32_e32 v50, v17, v74
	s_waitcnt vmcnt(4)
	v_mul_f32_e32 v48, v18, v59
	v_mul_f32_e32 v100, v22, v59
	s_waitcnt vmcnt(2)
	v_mul_f32_e32 v47, v46, v60
	v_mul_f32_e32 v101, v78, v60
	v_fma_f32 v59, v39, v71, -v98
	v_fma_f32 v60, v37, v73, -v99
	s_waitcnt vmcnt(1)
	v_fmac_f32_e32 v55, v34, v95
	v_fmac_f32_e32 v56, v32, v88
	v_fma_f32 v33, v19, v71, -v72
	v_add_f32_e32 v19, v15, v57
	v_fma_f32 v15, -0.5, v20, v15
	v_mul_f32_e32 v62, v34, v62
	v_mul_f32_e32 v76, v32, v76
	;; [unrolled: 1-line block ×5, first 2 shown]
	v_fmac_f32_e32 v50, v21, v73
	v_fmac_f32_e32 v48, v22, v75
	v_sub_f32_e32 v21, v59, v60
	v_mov_b32_e32 v20, v15
	v_add_f32_e32 v22, v55, v56
	v_fma_f32 v39, v40, v95, -v62
	v_fma_f32 v40, v38, v88, -v76
	s_waitcnt vmcnt(0)
	v_fmac_f32_e32 v53, v29, v97
	v_fmac_f32_e32 v54, v27, v90
	;; [unrolled: 1-line block ×4, first 2 shown]
	v_add_f32_e32 v21, v16, v55
	v_fmac_f32_e32 v16, -0.5, v22
	v_mul_f32_e32 v84, v29, v84
	v_mul_f32_e32 v86, v27, v86
	;; [unrolled: 1-line block ×4, first 2 shown]
	v_fmac_f32_e32 v49, v23, v71
	v_fmac_f32_e32 v45, v24, v61
	v_sub_f32_e32 v22, v39, v40
	v_mov_b32_e32 v23, v16
	v_add_f32_e32 v24, v53, v54
	v_mul_f32_e32 v80, v30, v80
	v_mul_f32_e32 v82, v28, v82
	v_fma_f32 v37, v35, v97, -v84
	v_fma_f32 v38, v25, v90, -v86
	v_fmac_f32_e32 v51, v30, v79
	v_fmac_f32_e32 v52, v28, v81
	;; [unrolled: 1-line block ×4, first 2 shown]
	v_add_f32_e32 v22, v13, v53
	v_fma_f32 v13, -0.5, v24, v13
	v_fma_f32 v35, v36, v79, -v80
	v_fma_f32 v36, v26, v81, -v82
	v_sub_f32_e32 v24, v37, v38
	v_mov_b32_e32 v25, v13
	v_add_f32_e32 v26, v51, v52
	v_fmac_f32_e32 v25, 0xbf5db3d7, v24
	v_fmac_f32_e32 v13, 0x3f5db3d7, v24
	v_add_f32_e32 v24, v14, v51
	v_fmac_f32_e32 v14, -0.5, v26
	v_sub_f32_e32 v26, v35, v36
	v_mov_b32_e32 v27, v14
	v_add_f32_e32 v28, v49, v50
	v_fma_f32 v34, v17, v73, -v74
	v_fmac_f32_e32 v27, 0xbf5db3d7, v26
	v_fmac_f32_e32 v14, 0x3f5db3d7, v26
	v_add_f32_e32 v26, v11, v49
	v_fma_f32 v11, -0.5, v28, v11
	v_sub_f32_e32 v28, v33, v34
	v_mov_b32_e32 v29, v11
	v_add_f32_e32 v30, v45, v48
	v_mul_f32_e32 v42, v44, v89
	v_fma_f32 v32, v18, v75, -v100
	v_fmac_f32_e32 v29, 0xbf5db3d7, v28
	v_fmac_f32_e32 v11, 0x3f5db3d7, v28
	v_add_f32_e32 v28, v12, v45
	v_fmac_f32_e32 v12, -0.5, v30
	v_fmac_f32_e32 v42, v77, v83
	v_sub_f32_e32 v30, v31, v32
	v_mov_b32_e32 v74, v12
	v_mul_f32_e32 v89, v77, v89
	v_fmac_f32_e32 v47, v78, v85
	v_fmac_f32_e32 v74, 0xbf5db3d7, v30
	;; [unrolled: 1-line block ×3, first 2 shown]
	v_add_f32_e32 v30, v70, v42
	v_fma_f32 v17, v44, v83, -v89
	v_add_f32_e32 v44, v30, v47
	v_add_f32_e32 v30, v42, v47
	v_fma_f32 v18, v46, v85, -v101
	v_fmac_f32_e32 v70, -0.5, v30
	v_sub_f32_e32 v30, v17, v18
	v_mov_b32_e32 v46, v70
	v_fmac_f32_e32 v46, 0xbf5db3d7, v30
	v_fmac_f32_e32 v70, 0x3f5db3d7, v30
	v_lshrrev_b32_e32 v30, 2, v63
	v_mul_u32_u24_e32 v30, 12, v30
	v_or_b32_e32 v30, v30, v91
	v_add_f32_e32 v19, v19, v58
	v_lshl_add_u32 v61, v30, 2, 0
	ds_write2_b32 v61, v19, v20 offset1:4
	ds_write_b32 v61, v15 offset:32
	v_lshrrev_b32_e32 v15, 2, v0
	v_mul_u32_u24_e32 v15, 12, v15
	v_or_b32_e32 v15, v15, v94
	v_lshl_add_u32 v62, v15, 2, 0
	v_lshrrev_b32_e32 v15, 2, v64
	v_mul_u32_u24_e32 v15, 12, v15
	v_or_b32_e32 v15, v15, v96
	v_add_f32_e32 v21, v21, v56
	v_add_f32_e32 v22, v22, v54
	v_lshl_add_u32 v71, v15, 2, 0
	ds_write2_b32 v62, v21, v23 offset1:4
	ds_write_b32 v62, v16 offset:32
	ds_write2_b32 v71, v22, v25 offset1:4
	ds_write_b32 v71, v13 offset:32
	v_lshrrev_b32_e32 v13, 2, v66
	v_mul_u32_u24_e32 v13, 12, v13
	v_or_b32_e32 v13, v13, v93
	v_lshl_add_u32 v72, v13, 2, 0
	v_lshrrev_b32_e32 v13, 2, v69
	v_mul_u32_u24_e32 v13, 12, v13
	v_or_b32_e32 v13, v13, v91
	v_add_f32_e32 v24, v24, v52
	v_add_f32_e32 v26, v26, v50
	v_lshl_add_u32 v73, v13, 2, 0
	ds_write2_b32 v72, v24, v27 offset1:4
	ds_write_b32 v72, v14 offset:32
	ds_write2_b32 v73, v26, v29 offset1:4
	ds_write_b32 v73, v11 offset:32
	v_lshrrev_b32_e32 v11, 2, v68
	v_mul_u32_u24_e32 v11, 12, v11
	v_or_b32_e32 v11, v11, v92
	v_add_f32_e32 v28, v28, v48
	v_lshl_add_u32 v75, v11, 2, 0
	ds_write2_b32 v75, v28, v74 offset1:4
	ds_write_b32 v75, v12 offset:32
	v_lshrrev_b32_e32 v74, 2, v67
	s_and_saveexec_b64 s[4:5], vcc
	s_cbranch_execz .LBB0_19
; %bb.18:
	v_mul_u32_u24_e32 v11, 12, v74
	v_or_b32_e32 v11, v11, v41
	v_lshl_add_u32 v11, v11, 2, 0
	ds_write2_b32 v11, v44, v46 offset1:4
	ds_write_b32 v11, v70 offset:32
.LBB0_19:
	s_or_b64 exec, exec, s[4:5]
	v_add_u32_e32 v11, 0x400, v65
	s_waitcnt lgkmcnt(0)
	; wave barrier
	s_waitcnt lgkmcnt(0)
	ds_read2_b32 v[27:28], v11 offset0:164 offset1:227
	v_add_u32_e32 v11, 0xc00, v65
	ds_read2_b32 v[15:16], v65 offset1:63
	ds_read2_b32 v[29:30], v11 offset0:72 offset1:135
	ds_read2_b32 v[13:14], v65 offset0:126 offset1:189
	v_add_u32_e32 v11, 0xe00, v65
	v_add_u32_e32 v19, 0x800, v65
	ds_read2_b32 v[25:26], v11 offset0:70 offset1:133
	v_add_u32_e32 v11, 0x200, v65
	ds_read2_b32 v[23:24], v19 offset0:34 offset1:97
	ds_read2_b32 v[11:12], v11 offset0:124 offset1:187
	;; [unrolled: 1-line block ×3, first 2 shown]
	v_add_u32_e32 v19, 0x1000, v65
	ds_read2_b32 v[19:20], v19 offset0:68 offset1:131
	s_and_saveexec_b64 s[4:5], vcc
	s_cbranch_execz .LBB0_21
; %bb.20:
	ds_read_b32 v44, v65 offset:1512
	ds_read_b32 v46, v65 offset:3192
	;; [unrolled: 1-line block ×3, first 2 shown]
.LBB0_21:
	s_or_b64 exec, exec, s[4:5]
	v_add_f32_e32 v76, v9, v59
	v_add_f32_e32 v59, v59, v60
	v_fma_f32 v9, -0.5, v59, v9
	v_sub_f32_e32 v57, v57, v58
	v_mov_b32_e32 v58, v9
	v_fmac_f32_e32 v58, 0x3f5db3d7, v57
	v_fmac_f32_e32 v9, 0xbf5db3d7, v57
	v_add_f32_e32 v57, v10, v39
	v_add_f32_e32 v39, v39, v40
	v_fmac_f32_e32 v10, -0.5, v39
	v_add_f32_e32 v57, v57, v40
	v_sub_f32_e32 v39, v55, v56
	v_mov_b32_e32 v40, v10
	v_fmac_f32_e32 v40, 0x3f5db3d7, v39
	v_fmac_f32_e32 v10, 0xbf5db3d7, v39
	v_add_f32_e32 v39, v7, v37
	v_add_f32_e32 v37, v37, v38
	v_fma_f32 v7, -0.5, v37, v7
	v_add_f32_e32 v39, v39, v38
	v_sub_f32_e32 v37, v53, v54
	v_mov_b32_e32 v38, v7
	v_fmac_f32_e32 v38, 0x3f5db3d7, v37
	v_fmac_f32_e32 v7, 0xbf5db3d7, v37
	v_add_f32_e32 v37, v8, v35
	v_add_f32_e32 v35, v35, v36
	v_fmac_f32_e32 v8, -0.5, v35
	v_add_f32_e32 v37, v37, v36
	v_sub_f32_e32 v35, v51, v52
	v_mov_b32_e32 v36, v8
	v_fmac_f32_e32 v36, 0x3f5db3d7, v35
	v_fmac_f32_e32 v8, 0xbf5db3d7, v35
	v_add_f32_e32 v35, v5, v33
	v_add_f32_e32 v33, v33, v34
	v_fma_f32 v33, -0.5, v33, v5
	v_add_f32_e32 v35, v35, v34
	v_sub_f32_e32 v5, v49, v50
	v_mov_b32_e32 v34, v33
	v_fmac_f32_e32 v34, 0x3f5db3d7, v5
	v_fmac_f32_e32 v33, 0xbf5db3d7, v5
	v_add_f32_e32 v5, v6, v31
	v_add_f32_e32 v49, v5, v32
	v_add_f32_e32 v5, v31, v32
	v_fmac_f32_e32 v6, -0.5, v5
	v_sub_f32_e32 v5, v45, v48
	v_mov_b32_e32 v31, v6
	v_fmac_f32_e32 v31, 0x3f5db3d7, v5
	v_fmac_f32_e32 v6, 0xbf5db3d7, v5
	v_add_f32_e32 v5, v43, v17
	v_add_f32_e32 v45, v5, v18
	;; [unrolled: 1-line block ×3, first 2 shown]
	v_fmac_f32_e32 v43, -0.5, v5
	v_sub_f32_e32 v17, v42, v47
	v_mov_b32_e32 v5, v43
	v_add_f32_e32 v76, v76, v60
	v_fmac_f32_e32 v5, 0x3f5db3d7, v17
	v_fmac_f32_e32 v43, 0xbf5db3d7, v17
	s_waitcnt lgkmcnt(0)
	; wave barrier
	s_waitcnt lgkmcnt(0)
	ds_write2_b32 v61, v76, v58 offset1:4
	ds_write_b32 v61, v9 offset:32
	ds_write2_b32 v62, v57, v40 offset1:4
	ds_write_b32 v62, v10 offset:32
	;; [unrolled: 2-line block ×6, first 2 shown]
	s_and_saveexec_b64 s[4:5], vcc
	s_cbranch_execz .LBB0_23
; %bb.22:
	v_mul_u32_u24_e32 v6, 12, v74
	v_or_b32_e32 v6, v6, v41
	v_lshl_add_u32 v6, v6, 2, 0
	ds_write2_b32 v6, v45, v5 offset1:4
	ds_write_b32 v6, v43 offset:32
.LBB0_23:
	s_or_b64 exec, exec, s[4:5]
	v_add_u32_e32 v8, 0x400, v65
	s_waitcnt lgkmcnt(0)
	; wave barrier
	s_waitcnt lgkmcnt(0)
	ds_read2_b32 v[39:40], v8 offset0:164 offset1:227
	v_add_u32_e32 v8, 0xc00, v65
	v_add_u32_e32 v17, 0xe00, v65
	ds_read2_b32 v[6:7], v65 offset1:63
	ds_read2_b32 v[41:42], v8 offset0:72 offset1:135
	ds_read2_b32 v[8:9], v65 offset0:126 offset1:189
	v_add_u32_e32 v10, 0x800, v65
	ds_read2_b32 v[37:38], v17 offset0:70 offset1:133
	v_add_u32_e32 v17, 0x200, v65
	ds_read2_b32 v[35:36], v10 offset0:34 offset1:97
	ds_read2_b32 v[17:18], v17 offset0:124 offset1:187
	;; [unrolled: 1-line block ×3, first 2 shown]
	v_add_u32_e32 v10, 0x1000, v65
	ds_read2_b32 v[31:32], v10 offset0:68 offset1:131
	s_and_saveexec_b64 s[4:5], vcc
	s_cbranch_execz .LBB0_25
; %bb.24:
	ds_read_b32 v45, v65 offset:1512
	ds_read_b32 v5, v65 offset:3192
	;; [unrolled: 1-line block ×3, first 2 shown]
.LBB0_25:
	s_or_b64 exec, exec, s[4:5]
	s_movk_i32 s4, 0xab
	v_mul_lo_u16_sdwa v10, v63, s4 dst_sel:DWORD dst_unused:UNUSED_PAD src0_sel:BYTE_0 src1_sel:DWORD
	v_mul_lo_u16_sdwa v48, v0, s4 dst_sel:DWORD dst_unused:UNUSED_PAD src0_sel:BYTE_0 src1_sel:DWORD
	v_lshrrev_b16_e32 v62, 11, v10
	v_lshrrev_b16_e32 v96, 11, v48
	v_mul_lo_u16_e32 v10, 12, v62
	v_mul_lo_u16_e32 v48, 12, v96
	v_sub_u16_e32 v95, v63, v10
	v_mov_b32_e32 v10, 4
	v_sub_u16_e32 v97, v0, v48
	v_lshlrev_b32_sdwa v47, v10, v95 dst_sel:DWORD dst_unused:UNUSED_PAD src0_sel:DWORD src1_sel:BYTE_0
	v_lshlrev_b32_sdwa v48, v10, v97 dst_sel:DWORD dst_unused:UNUSED_PAD src0_sel:DWORD src1_sel:BYTE_0
	global_load_dwordx4 v[58:61], v47, s[8:9] offset:80
	global_load_dwordx4 v[71:74], v48, s[8:9] offset:80
	v_mul_lo_u16_sdwa v47, v64, s4 dst_sel:DWORD dst_unused:UNUSED_PAD src0_sel:BYTE_0 src1_sel:DWORD
	v_mul_lo_u16_sdwa v48, v66, s4 dst_sel:DWORD dst_unused:UNUSED_PAD src0_sel:BYTE_0 src1_sel:DWORD
	v_lshrrev_b16_e32 v98, 11, v47
	v_lshrrev_b16_e32 v100, 11, v48
	v_mul_lo_u16_e32 v47, 12, v98
	v_mul_lo_u16_e32 v48, 12, v100
	v_sub_u16_e32 v99, v64, v47
	v_sub_u16_e32 v101, v66, v48
	v_lshlrev_b32_sdwa v47, v10, v99 dst_sel:DWORD dst_unused:UNUSED_PAD src0_sel:DWORD src1_sel:BYTE_0
	v_lshlrev_b32_sdwa v10, v10, v101 dst_sel:DWORD dst_unused:UNUSED_PAD src0_sel:DWORD src1_sel:BYTE_0
	s_mov_b32 s4, 0xaaab
	global_load_dwordx4 v[75:78], v47, s[8:9] offset:80
	global_load_dwordx4 v[79:82], v10, s[8:9] offset:80
	v_mul_u32_u24_sdwa v10, v69, s4 dst_sel:DWORD dst_unused:UNUSED_PAD src0_sel:WORD_0 src1_sel:DWORD
	v_lshrrev_b32_e32 v102, 19, v10
	v_mul_lo_u16_e32 v10, 12, v102
	v_sub_u16_e32 v69, v69, v10
	v_mul_u32_u24_sdwa v47, v68, s4 dst_sel:DWORD dst_unused:UNUSED_PAD src0_sel:WORD_0 src1_sel:DWORD
	v_lshlrev_b32_e32 v10, 4, v69
	v_lshrrev_b32_e32 v103, 19, v47
	global_load_dwordx4 v[83:86], v10, s[8:9] offset:80
	v_mul_lo_u16_e32 v10, 12, v103
	v_sub_u16_e32 v68, v68, v10
	v_lshlrev_b32_e32 v10, 4, v68
	global_load_dwordx4 v[87:90], v10, s[8:9] offset:80
	v_mul_u32_u24_sdwa v10, v67, s4 dst_sel:DWORD dst_unused:UNUSED_PAD src0_sel:WORD_0 src1_sel:DWORD
	v_lshrrev_b32_e32 v104, 19, v10
	v_mul_lo_u16_e32 v10, 12, v104
	v_sub_u16_e32 v67, v67, v10
	v_lshlrev_b32_e32 v10, 4, v67
	global_load_dwordx4 v[91:94], v10, s[8:9] offset:80
	s_waitcnt lgkmcnt(0)
	; wave barrier
	s_waitcnt vmcnt(6) lgkmcnt(0)
	v_mul_f32_e32 v56, v39, v59
	v_mul_f32_e32 v57, v41, v61
	;; [unrolled: 1-line block ×4, first 2 shown]
	s_waitcnt vmcnt(5)
	v_mul_f32_e32 v54, v40, v72
	v_mul_f32_e32 v61, v28, v72
	;; [unrolled: 1-line block ×4, first 2 shown]
	v_fmac_f32_e32 v56, v27, v58
	v_fmac_f32_e32 v57, v29, v60
	v_fma_f32 v39, v39, v58, -v49
	v_fma_f32 v41, v41, v60, -v59
	s_waitcnt vmcnt(4)
	v_mul_f32_e32 v52, v35, v76
	v_mul_f32_e32 v74, v23, v76
	v_mul_f32_e32 v53, v37, v78
	v_mul_f32_e32 v76, v25, v78
	s_waitcnt vmcnt(3)
	v_mul_f32_e32 v50, v36, v80
	v_mul_f32_e32 v78, v24, v80
	v_mul_f32_e32 v51, v38, v82
	v_mul_f32_e32 v80, v26, v82
	v_fmac_f32_e32 v54, v28, v71
	s_waitcnt vmcnt(2)
	v_mul_f32_e32 v47, v33, v84
	v_mul_f32_e32 v82, v21, v84
	;; [unrolled: 1-line block ×4, first 2 shown]
	s_waitcnt vmcnt(1)
	v_mul_f32_e32 v10, v34, v88
	v_mul_f32_e32 v86, v22, v88
	v_fmac_f32_e32 v10, v22, v87
	v_fma_f32 v22, v34, v87, -v86
	v_add_f32_e32 v34, v56, v57
	v_fmac_f32_e32 v55, v30, v73
	v_fmac_f32_e32 v52, v23, v75
	v_fma_f32 v23, v33, v83, -v82
	v_add_f32_e32 v33, v15, v56
	v_fma_f32 v15, -0.5, v34, v15
	v_fma_f32 v27, v35, v75, -v74
	v_fmac_f32_e32 v53, v25, v77
	v_fma_f32 v25, v36, v79, -v78
	v_sub_f32_e32 v34, v39, v41
	v_mov_b32_e32 v35, v15
	v_add_f32_e32 v36, v54, v55
	v_fma_f32 v29, v40, v71, -v61
	v_fma_f32 v30, v42, v73, -v72
	v_fmac_f32_e32 v51, v26, v81
	v_fma_f32 v26, v38, v81, -v80
	v_fmac_f32_e32 v47, v21, v83
	v_fmac_f32_e32 v48, v19, v85
	v_mul_f32_e32 v21, v32, v90
	v_mul_f32_e32 v19, v20, v90
	v_fmac_f32_e32 v35, 0xbf5db3d7, v34
	v_fmac_f32_e32 v15, 0x3f5db3d7, v34
	v_add_f32_e32 v34, v16, v54
	v_fmac_f32_e32 v16, -0.5, v36
	v_add_f32_e32 v38, v52, v53
	v_fma_f32 v28, v37, v77, -v76
	v_fmac_f32_e32 v50, v24, v79
	v_fma_f32 v24, v31, v85, -v84
	v_fmac_f32_e32 v21, v20, v89
	v_fma_f32 v20, v32, v89, -v19
	s_waitcnt vmcnt(0)
	v_mul_f32_e32 v31, v46, v92
	v_mul_f32_e32 v32, v70, v94
	v_sub_f32_e32 v36, v29, v30
	v_mov_b32_e32 v37, v16
	v_fma_f32 v38, -0.5, v38, v13
	v_mul_f32_e32 v19, v5, v92
	v_fma_f32 v31, v5, v91, -v31
	v_mul_f32_e32 v5, v43, v94
	v_fma_f32 v32, v43, v93, -v32
	v_fmac_f32_e32 v37, 0xbf5db3d7, v36
	v_fmac_f32_e32 v16, 0x3f5db3d7, v36
	v_add_f32_e32 v36, v13, v52
	v_sub_f32_e32 v13, v27, v28
	v_mov_b32_e32 v43, v38
	v_fmac_f32_e32 v43, 0xbf5db3d7, v13
	v_fmac_f32_e32 v38, 0x3f5db3d7, v13
	v_add_f32_e32 v13, v14, v50
	v_fmac_f32_e32 v19, v46, v91
	v_add_f32_e32 v46, v13, v51
	v_add_f32_e32 v13, v50, v51
	v_fmac_f32_e32 v14, -0.5, v13
	v_sub_f32_e32 v13, v25, v26
	v_mov_b32_e32 v59, v14
	v_fmac_f32_e32 v59, 0xbf5db3d7, v13
	v_fmac_f32_e32 v14, 0x3f5db3d7, v13
	v_add_f32_e32 v13, v11, v47
	v_add_f32_e32 v60, v13, v48
	;; [unrolled: 1-line block ×3, first 2 shown]
	v_mov_b32_e32 v58, 2
	v_fma_f32 v61, -0.5, v13, v11
	v_mul_u32_u24_e32 v40, 0x90, v62
	v_lshlrev_b32_sdwa v42, v58, v95 dst_sel:DWORD dst_unused:UNUSED_PAD src0_sel:DWORD src1_sel:BYTE_0
	v_fmac_f32_e32 v5, v70, v93
	v_add_f32_e32 v33, v33, v57
	v_sub_f32_e32 v11, v23, v24
	v_mov_b32_e32 v70, v61
	v_add3_u32 v40, 0, v40, v42
	v_fmac_f32_e32 v70, 0xbf5db3d7, v11
	v_fmac_f32_e32 v61, 0x3f5db3d7, v11
	v_add_f32_e32 v11, v12, v10
	ds_write2_b32 v40, v33, v35 offset1:12
	ds_write_b32 v40, v15 offset:96
	v_mul_u32_u24_e32 v15, 0x90, v96
	v_lshlrev_b32_sdwa v33, v58, v97 dst_sel:DWORD dst_unused:UNUSED_PAD src0_sel:DWORD src1_sel:BYTE_0
	v_add_f32_e32 v34, v34, v55
	v_add_f32_e32 v71, v11, v21
	;; [unrolled: 1-line block ×3, first 2 shown]
	v_add3_u32 v42, 0, v15, v33
	v_fmac_f32_e32 v12, -0.5, v11
	ds_write2_b32 v42, v34, v37 offset1:12
	ds_write_b32 v42, v16 offset:96
	v_mul_u32_u24_e32 v15, 0x90, v98
	v_lshlrev_b32_sdwa v16, v58, v99 dst_sel:DWORD dst_unused:UNUSED_PAD src0_sel:DWORD src1_sel:BYTE_0
	v_sub_f32_e32 v11, v22, v20
	v_mov_b32_e32 v72, v12
	v_add3_u32 v16, 0, v15, v16
	v_mul_u32_u24_e32 v15, 0x90, v100
	v_lshlrev_b32_sdwa v33, v58, v101 dst_sel:DWORD dst_unused:UNUSED_PAD src0_sel:DWORD src1_sel:BYTE_0
	v_add_f32_e32 v36, v36, v53
	v_fmac_f32_e32 v72, 0xbf5db3d7, v11
	v_fmac_f32_e32 v12, 0x3f5db3d7, v11
	v_add_f32_e32 v11, v19, v5
	v_add3_u32 v58, 0, v15, v33
	v_fma_f32 v11, -0.5, v11, v44
	ds_write2_b32 v16, v36, v43 offset1:12
	ds_write_b32 v16, v38 offset:96
	ds_write2_b32 v58, v46, v59 offset1:12
	ds_write_b32 v58, v14 offset:96
	v_mul_u32_u24_e32 v14, 0x90, v102
	v_lshlrev_b32_e32 v15, 2, v69
	v_sub_f32_e32 v13, v31, v32
	v_mov_b32_e32 v49, v11
	v_add3_u32 v59, 0, v14, v15
	v_mul_u32_u24_e32 v14, 0x90, v103
	v_lshlrev_b32_e32 v15, 2, v68
	v_fmac_f32_e32 v49, 0x3f5db3d7, v13
	ds_write2_b32 v59, v60, v70 offset1:12
	ds_write_b32 v59, v61 offset:96
	v_add3_u32 v60, 0, v14, v15
	v_mul_lo_u16_e32 v43, 36, v104
	v_lshlrev_b32_e32 v46, 2, v67
	ds_write2_b32 v60, v71, v72 offset1:12
	ds_write_b32 v60, v12 offset:96
	s_and_saveexec_b64 s[4:5], vcc
	s_cbranch_execz .LBB0_27
; %bb.26:
	v_mul_f32_e32 v12, 0x3f5db3d7, v13
	v_sub_f32_e32 v11, v11, v12
	v_add_f32_e32 v12, v44, v19
	v_lshlrev_b32_e32 v13, 2, v43
	v_add_f32_e32 v12, v12, v5
	v_add3_u32 v13, 0, v46, v13
	ds_write2_b32 v13, v12, v11 offset1:12
	ds_write_b32 v13, v49 offset:96
.LBB0_27:
	s_or_b64 exec, exec, s[4:5]
	v_add_f32_e32 v11, v6, v39
	v_add_f32_e32 v44, v11, v41
	v_add_f32_e32 v11, v39, v41
	v_fma_f32 v61, -0.5, v11, v6
	v_sub_f32_e32 v6, v56, v57
	v_mov_b32_e32 v56, v61
	v_fmac_f32_e32 v56, 0x3f5db3d7, v6
	v_fmac_f32_e32 v61, 0xbf5db3d7, v6
	v_add_f32_e32 v6, v7, v29
	v_add_f32_e32 v57, v6, v30
	v_add_f32_e32 v6, v29, v30
	v_fmac_f32_e32 v7, -0.5, v6
	v_sub_f32_e32 v6, v54, v55
	v_mov_b32_e32 v54, v7
	v_fmac_f32_e32 v54, 0x3f5db3d7, v6
	v_fmac_f32_e32 v7, 0xbf5db3d7, v6
	v_add_f32_e32 v6, v8, v27
	v_add_f32_e32 v55, v6, v28
	v_add_f32_e32 v6, v27, v28
	v_fma_f32 v62, -0.5, v6, v8
	v_sub_f32_e32 v6, v52, v53
	v_mov_b32_e32 v52, v62
	v_fmac_f32_e32 v52, 0x3f5db3d7, v6
	v_fmac_f32_e32 v62, 0xbf5db3d7, v6
	v_add_f32_e32 v6, v9, v25
	v_add_f32_e32 v53, v6, v26
	v_add_f32_e32 v6, v25, v26
	v_fmac_f32_e32 v9, -0.5, v6
	v_sub_f32_e32 v6, v50, v51
	v_mov_b32_e32 v51, v9
	v_fmac_f32_e32 v51, 0x3f5db3d7, v6
	v_fmac_f32_e32 v9, 0xbf5db3d7, v6
	;; [unrolled: 16-line block ×3, first 2 shown]
	v_add_f32_e32 v6, v31, v32
	v_add_u32_e32 v8, 0x200, v65
	v_add_u32_e32 v38, 0x600, v65
	;; [unrolled: 1-line block ×8, first 2 shown]
	v_fma_f32 v17, -0.5, v6, v45
	v_sub_f32_e32 v41, v19, v5
	s_waitcnt lgkmcnt(0)
	; wave barrier
	s_waitcnt lgkmcnt(0)
	ds_read2_b32 v[10:11], v65 offset1:63
	ds_read2_b32 v[23:24], v8 offset0:124 offset1:187
	ds_read2_b32 v[25:26], v38 offset0:120 offset1:183
	;; [unrolled: 1-line block ×9, first 2 shown]
	v_mov_b32_e32 v50, v17
	v_fmac_f32_e32 v50, 0xbf5db3d7, v41
	s_waitcnt lgkmcnt(0)
	; wave barrier
	s_waitcnt lgkmcnt(0)
	ds_write2_b32 v40, v44, v56 offset1:12
	ds_write_b32 v40, v61 offset:96
	ds_write2_b32 v42, v57, v54 offset1:12
	ds_write_b32 v42, v7 offset:96
	;; [unrolled: 2-line block ×6, first 2 shown]
	s_and_saveexec_b64 s[4:5], vcc
	s_cbranch_execz .LBB0_29
; %bb.28:
	v_mul_f32_e32 v7, 0x3f5db3d7, v41
	v_add_f32_e32 v9, v45, v31
	v_lshlrev_b32_e32 v16, 2, v43
	v_add_f32_e32 v9, v9, v32
	v_add_f32_e32 v7, v7, v17
	v_add3_u32 v16, 0, v46, v16
	ds_write2_b32 v16, v9, v7 offset1:12
	ds_write_b32 v16, v50 offset:96
.LBB0_29:
	s_or_b64 exec, exec, s[4:5]
	v_subrev_u32_e32 v7, 36, v63
	v_cmp_gt_u32_e32 vcc, 36, v63
	v_cndmask_b32_e32 v7, v7, v63, vcc
	v_lshlrev_b32_e32 v31, 2, v7
	v_mov_b32_e32 v32, 0
	v_lshlrev_b64 v[16:17], 3, v[31:32]
	v_mov_b32_e32 v7, s9
	v_add_co_u32_e32 v16, vcc, s8, v16
	v_addc_co_u32_e32 v17, vcc, v7, v17, vcc
	v_mov_b32_e32 v7, 57
	v_mul_lo_u16_sdwa v9, v0, v7 dst_sel:DWORD dst_unused:UNUSED_PAD src0_sel:BYTE_0 src1_sel:DWORD
	v_lshrrev_b16_e32 v32, 11, v9
	v_mul_lo_u16_e32 v9, 36, v32
	s_waitcnt lgkmcnt(0)
	; wave barrier
	s_waitcnt lgkmcnt(0)
	global_load_dwordx4 v[40:43], v[16:17], off offset:288
	global_load_dwordx4 v[45:48], v[16:17], off offset:272
	v_sub_u16_e32 v9, v0, v9
	v_mov_b32_e32 v16, 5
	v_lshlrev_b32_sdwa v17, v16, v9 dst_sel:DWORD dst_unused:UNUSED_PAD src0_sel:DWORD src1_sel:BYTE_0
	global_load_dwordx4 v[72:75], v17, s[8:9] offset:272
	global_load_dwordx4 v[76:79], v17, s[8:9] offset:288
	v_mul_lo_u16_sdwa v17, v64, v7 dst_sel:DWORD dst_unused:UNUSED_PAD src0_sel:BYTE_0 src1_sel:DWORD
	v_lshrrev_b16_e32 v106, 11, v17
	v_mul_lo_u16_e32 v17, 36, v106
	v_sub_u16_e32 v18, v64, v17
	v_mul_lo_u16_sdwa v7, v66, v7 dst_sel:DWORD dst_unused:UNUSED_PAD src0_sel:BYTE_0 src1_sel:DWORD
	v_lshlrev_b32_sdwa v17, v16, v18 dst_sel:DWORD dst_unused:UNUSED_PAD src0_sel:DWORD src1_sel:BYTE_0
	v_lshrrev_b16_e32 v107, 11, v7
	global_load_dwordx4 v[80:83], v17, s[8:9] offset:272
	global_load_dwordx4 v[84:87], v17, s[8:9] offset:288
	v_mul_lo_u16_e32 v7, 36, v107
	v_sub_u16_e32 v108, v66, v7
	v_lshlrev_b32_sdwa v7, v16, v108 dst_sel:DWORD dst_unused:UNUSED_PAD src0_sel:DWORD src1_sel:BYTE_0
	global_load_dwordx4 v[88:91], v7, s[8:9] offset:272
	global_load_dwordx4 v[92:95], v7, s[8:9] offset:288
	ds_read2_b32 v[16:17], v65 offset1:63
	ds_read2_b32 v[51:52], v8 offset0:124 offset1:187
	ds_read2_b32 v[53:54], v38 offset0:120 offset1:183
	;; [unrolled: 1-line block ×9, first 2 shown]
	v_mov_b32_e32 v109, 2
	v_lshlrev_b32_sdwa v110, v109, v9 dst_sel:DWORD dst_unused:UNUSED_PAD src0_sel:DWORD src1_sel:BYTE_0
	v_lshlrev_b32_sdwa v111, v109, v18 dst_sel:DWORD dst_unused:UNUSED_PAD src0_sel:DWORD src1_sel:BYTE_0
	v_cmp_lt_u32_e32 vcc, 35, v63
	s_waitcnt lgkmcnt(0)
	; wave barrier
	s_waitcnt vmcnt(7) lgkmcnt(0)
	v_mul_f32_e32 v71, v38, v43
	s_waitcnt vmcnt(6)
	v_mul_f32_e32 v9, v23, v46
	v_mul_f32_e32 v67, v51, v46
	v_fma_f32 v61, v51, v45, -v9
	v_mul_f32_e32 v46, v29, v43
	v_fmac_f32_e32 v67, v23, v45
	v_mul_f32_e32 v62, v53, v48
	v_mul_f32_e32 v18, v25, v48
	v_fma_f32 v70, v38, v42, -v46
	v_fmac_f32_e32 v62, v25, v47
	v_fma_f32 v66, v53, v47, -v18
	s_waitcnt vmcnt(5)
	v_mul_f32_e32 v57, v52, v73
	s_waitcnt vmcnt(3)
	v_mul_f32_e32 v9, v19, v83
	v_fma_f32 v45, v100, v82, -v9
	s_waitcnt vmcnt(2)
	v_mul_f32_e32 v9, v14, v85
	v_fma_f32 v46, v102, v84, -v9
	v_mul_f32_e32 v9, v12, v87
	v_fma_f32 v47, v104, v86, -v9
	s_waitcnt vmcnt(1)
	v_mul_f32_e32 v9, v22, v89
	v_mul_f32_e32 v48, v24, v73
	;; [unrolled: 1-line block ×5, first 2 shown]
	v_fma_f32 v38, v99, v88, -v9
	v_mul_f32_e32 v9, v20, v91
	v_mul_f32_e32 v69, v96, v41
	;; [unrolled: 1-line block ×5, first 2 shown]
	v_fma_f32 v54, v54, v74, -v56
	v_fma_f32 v56, v97, v76, -v59
	;; [unrolled: 1-line block ×4, first 2 shown]
	s_waitcnt vmcnt(0)
	v_mul_f32_e32 v9, v15, v93
	v_fmac_f32_e32 v69, v27, v40
	v_fma_f32 v68, v96, v40, -v41
	v_fma_f32 v40, v103, v92, -v9
	v_mul_f32_e32 v9, v13, v95
	v_fma_f32 v41, v105, v94, -v9
	v_add_f32_e32 v9, v10, v67
	v_fmac_f32_e32 v71, v29, v42
	v_mul_f32_e32 v42, v101, v91
	v_add_f32_e32 v9, v9, v62
	v_mul_f32_e32 v43, v100, v83
	v_fmac_f32_e32 v42, v20, v90
	v_mul_f32_e32 v20, v103, v93
	v_add_f32_e32 v9, v9, v69
	v_fmac_f32_e32 v43, v19, v82
	v_mul_f32_e32 v19, v99, v89
	v_fmac_f32_e32 v20, v15, v92
	v_add_f32_e32 v15, v9, v71
	v_add_f32_e32 v9, v62, v69
	v_fmac_f32_e32 v19, v22, v88
	v_fma_f32 v22, -0.5, v9, v10
	v_fma_f32 v53, v52, v72, -v48
	v_mul_f32_e32 v51, v102, v85
	v_mul_f32_e32 v52, v104, v87
	;; [unrolled: 1-line block ×3, first 2 shown]
	v_sub_f32_e32 v9, v61, v70
	v_mov_b32_e32 v23, v22
	v_fmac_f32_e32 v51, v14, v84
	v_fmac_f32_e32 v52, v12, v86
	v_fmac_f32_e32 v48, v13, v94
	v_fmac_f32_e32 v23, 0xbf737871, v9
	v_sub_f32_e32 v12, v66, v68
	v_sub_f32_e32 v13, v67, v62
	;; [unrolled: 1-line block ×3, first 2 shown]
	v_fmac_f32_e32 v22, 0x3f737871, v9
	v_fmac_f32_e32 v23, 0xbf167918, v12
	v_add_f32_e32 v13, v13, v14
	v_fmac_f32_e32 v22, 0x3f167918, v12
	v_fmac_f32_e32 v23, 0x3e9e377a, v13
	;; [unrolled: 1-line block ×3, first 2 shown]
	v_add_f32_e32 v13, v67, v71
	v_fmac_f32_e32 v57, v24, v72
	v_fma_f32 v24, -0.5, v13, v10
	v_mov_b32_e32 v25, v24
	v_fmac_f32_e32 v25, 0x3f737871, v12
	v_fmac_f32_e32 v24, 0xbf737871, v12
	v_mul_f32_e32 v58, v97, v77
	v_fmac_f32_e32 v55, v26, v74
	v_fmac_f32_e32 v25, 0xbf167918, v9
	;; [unrolled: 1-line block ×3, first 2 shown]
	v_add_f32_e32 v9, v11, v57
	v_fmac_f32_e32 v58, v28, v76
	v_add_f32_e32 v9, v9, v55
	v_fmac_f32_e32 v60, v30, v78
	v_add_f32_e32 v9, v9, v58
	v_add_f32_e32 v26, v9, v60
	;; [unrolled: 1-line block ×3, first 2 shown]
	v_sub_f32_e32 v10, v62, v67
	v_sub_f32_e32 v13, v69, v71
	v_fma_f32 v27, -0.5, v9, v11
	v_add_f32_e32 v10, v10, v13
	v_sub_f32_e32 v9, v53, v59
	v_mov_b32_e32 v28, v27
	v_fmac_f32_e32 v25, 0x3e9e377a, v10
	v_fmac_f32_e32 v24, 0x3e9e377a, v10
	;; [unrolled: 1-line block ×3, first 2 shown]
	v_sub_f32_e32 v10, v54, v56
	v_sub_f32_e32 v12, v57, v55
	;; [unrolled: 1-line block ×3, first 2 shown]
	v_fmac_f32_e32 v27, 0x3f737871, v9
	v_fmac_f32_e32 v28, 0xbf167918, v10
	v_add_f32_e32 v12, v12, v13
	v_fmac_f32_e32 v27, 0x3f167918, v10
	v_fmac_f32_e32 v28, 0x3e9e377a, v12
	;; [unrolled: 1-line block ×3, first 2 shown]
	v_add_f32_e32 v12, v57, v60
	v_fmac_f32_e32 v11, -0.5, v12
	v_mul_f32_e32 v44, v98, v81
	v_mov_b32_e32 v29, v11
	v_fmac_f32_e32 v44, v21, v80
	v_fmac_f32_e32 v29, 0x3f737871, v10
	;; [unrolled: 1-line block ×5, first 2 shown]
	v_add_f32_e32 v9, v5, v44
	v_add_f32_e32 v9, v9, v43
	;; [unrolled: 1-line block ×3, first 2 shown]
	v_mul_f32_e32 v75, v21, v81
	v_add_f32_e32 v30, v9, v52
	v_add_f32_e32 v9, v43, v51
	v_fma_f32 v18, v98, v80, -v75
	v_sub_f32_e32 v12, v55, v57
	v_sub_f32_e32 v13, v58, v60
	v_fma_f32 v9, -0.5, v9, v5
	v_add_f32_e32 v12, v12, v13
	v_sub_f32_e32 v10, v18, v47
	v_mov_b32_e32 v74, v9
	v_fmac_f32_e32 v29, 0x3e9e377a, v12
	v_fmac_f32_e32 v11, 0x3e9e377a, v12
	;; [unrolled: 1-line block ×3, first 2 shown]
	v_sub_f32_e32 v12, v45, v46
	v_sub_f32_e32 v13, v44, v43
	;; [unrolled: 1-line block ×3, first 2 shown]
	v_fmac_f32_e32 v9, 0x3f737871, v10
	v_fmac_f32_e32 v74, 0xbf167918, v12
	v_add_f32_e32 v13, v13, v14
	v_fmac_f32_e32 v9, 0x3f167918, v12
	v_fmac_f32_e32 v74, 0x3e9e377a, v13
	;; [unrolled: 1-line block ×3, first 2 shown]
	v_add_f32_e32 v13, v44, v52
	v_fma_f32 v75, -0.5, v13, v5
	v_mov_b32_e32 v76, v75
	v_fmac_f32_e32 v76, 0x3f737871, v12
	v_sub_f32_e32 v5, v43, v44
	v_sub_f32_e32 v13, v51, v52
	v_fmac_f32_e32 v75, 0xbf737871, v12
	v_fmac_f32_e32 v76, 0xbf167918, v10
	v_add_f32_e32 v5, v5, v13
	v_fmac_f32_e32 v75, 0x3f167918, v10
	v_fmac_f32_e32 v76, 0x3e9e377a, v5
	;; [unrolled: 1-line block ×3, first 2 shown]
	v_add_f32_e32 v5, v6, v19
	v_add_f32_e32 v5, v5, v42
	;; [unrolled: 1-line block ×5, first 2 shown]
	v_fma_f32 v12, -0.5, v5, v6
	v_sub_f32_e32 v5, v38, v41
	v_mov_b32_e32 v13, v12
	v_fmac_f32_e32 v13, 0xbf737871, v5
	v_sub_f32_e32 v72, v39, v40
	v_sub_f32_e32 v14, v19, v42
	;; [unrolled: 1-line block ×3, first 2 shown]
	v_fmac_f32_e32 v12, 0x3f737871, v5
	v_fmac_f32_e32 v13, 0xbf167918, v72
	v_add_f32_e32 v14, v14, v73
	v_fmac_f32_e32 v12, 0x3f167918, v72
	v_fmac_f32_e32 v13, 0x3e9e377a, v14
	;; [unrolled: 1-line block ×3, first 2 shown]
	v_add_f32_e32 v14, v19, v48
	v_fmac_f32_e32 v6, -0.5, v14
	v_mov_b32_e32 v14, v6
	v_fmac_f32_e32 v14, 0x3f737871, v72
	v_fmac_f32_e32 v6, 0xbf737871, v72
	;; [unrolled: 1-line block ×4, first 2 shown]
	v_mov_b32_e32 v5, 0x2d0
	v_cndmask_b32_e32 v5, 0, v5, vcc
	v_add3_u32 v5, 0, v5, v31
	ds_write2_b32 v5, v15, v23 offset1:36
	ds_write2_b32 v5, v25, v24 offset0:72 offset1:108
	ds_write_b32 v5, v22 offset:576
	v_mul_u32_u24_e32 v15, 0x2d0, v32
	v_sub_f32_e32 v73, v42, v19
	v_sub_f32_e32 v77, v20, v48
	v_add3_u32 v72, 0, v15, v110
	v_add_f32_e32 v73, v73, v77
	ds_write2_b32 v72, v26, v28 offset1:36
	ds_write2_b32 v72, v29, v11 offset0:72 offset1:108
	ds_write_b32 v72, v27 offset:576
	v_mul_u32_u24_e32 v11, 0x2d0, v106
	v_lshlrev_b32_sdwa v21, v109, v108 dst_sel:DWORD dst_unused:UNUSED_PAD src0_sel:DWORD src1_sel:BYTE_0
	v_fmac_f32_e32 v14, 0x3e9e377a, v73
	v_fmac_f32_e32 v6, 0x3e9e377a, v73
	v_add3_u32 v73, 0, v11, v111
	v_mul_u32_u24_e32 v11, 0x2d0, v107
	ds_write2_b32 v73, v30, v74 offset1:36
	ds_write2_b32 v73, v76, v75 offset0:72 offset1:108
	ds_write_b32 v73, v9 offset:576
	v_add3_u32 v74, 0, v11, v21
	ds_write2_b32 v74, v10, v13 offset1:36
	ds_write2_b32 v74, v14, v6 offset0:72 offset1:108
	ds_write_b32 v74, v12 offset:576
	s_waitcnt lgkmcnt(0)
	; wave barrier
	s_waitcnt lgkmcnt(0)
	ds_read2_b32 v[21:22], v65 offset1:63
	ds_read2_b32 v[31:32], v65 offset0:180 offset1:243
	ds_read2_b32 v[23:24], v34 offset0:104 offset1:167
	;; [unrolled: 1-line block ×6, first 2 shown]
	v_cmp_gt_u32_e32 vcc, 54, v63
	s_and_saveexec_b64 s[4:5], vcc
	s_cbranch_execz .LBB0_31
; %bb.30:
	v_add_u32_e32 v6, 0x100, v65
	ds_read2_b32 v[9:10], v6 offset0:62 offset1:242
	v_add_u32_e32 v6, 0x700, v65
	ds_read2_b32 v[13:14], v6 offset0:38 offset1:218
	;; [unrolled: 2-line block ×3, first 2 shown]
	ds_read_b32 v49, v65 offset:4824
	s_waitcnt lgkmcnt(1)
	v_mov_b32_e32 v6, v11
.LBB0_31:
	s_or_b64 exec, exec, s[4:5]
	v_add_f32_e32 v15, v66, v68
	v_fma_f32 v35, -0.5, v15, v16
	v_sub_f32_e32 v15, v67, v71
	v_mov_b32_e32 v36, v35
	v_fmac_f32_e32 v36, 0x3f737871, v15
	v_sub_f32_e32 v37, v62, v69
	v_sub_f32_e32 v62, v61, v66
	v_sub_f32_e32 v67, v70, v68
	v_fmac_f32_e32 v35, 0xbf737871, v15
	v_fmac_f32_e32 v36, 0x3f167918, v37
	v_add_f32_e32 v62, v62, v67
	v_fmac_f32_e32 v35, 0xbf167918, v37
	v_fmac_f32_e32 v36, 0x3e9e377a, v62
	;; [unrolled: 1-line block ×3, first 2 shown]
	v_add_f32_e32 v62, v61, v70
	v_fma_f32 v62, -0.5, v62, v16
	v_mov_b32_e32 v67, v62
	v_fmac_f32_e32 v67, 0xbf737871, v37
	v_fmac_f32_e32 v62, 0x3f737871, v37
	;; [unrolled: 1-line block ×4, first 2 shown]
	v_add_f32_e32 v15, v17, v53
	v_add_f32_e32 v15, v15, v54
	;; [unrolled: 1-line block ×4, first 2 shown]
	v_sub_f32_e32 v16, v66, v61
	v_sub_f32_e32 v61, v68, v70
	v_add_f32_e32 v37, v15, v59
	v_add_f32_e32 v15, v54, v56
	v_add_f32_e32 v16, v16, v61
	v_fma_f32 v61, -0.5, v15, v17
	v_sub_f32_e32 v15, v57, v60
	v_mov_b32_e32 v57, v61
	v_fmac_f32_e32 v67, 0x3e9e377a, v16
	v_fmac_f32_e32 v62, 0x3e9e377a, v16
	;; [unrolled: 1-line block ×3, first 2 shown]
	v_sub_f32_e32 v16, v55, v58
	v_sub_f32_e32 v55, v53, v54
	;; [unrolled: 1-line block ×3, first 2 shown]
	v_fmac_f32_e32 v61, 0xbf737871, v15
	v_fmac_f32_e32 v57, 0x3f167918, v16
	v_add_f32_e32 v55, v55, v58
	v_fmac_f32_e32 v61, 0xbf167918, v16
	v_fmac_f32_e32 v57, 0x3e9e377a, v55
	;; [unrolled: 1-line block ×3, first 2 shown]
	v_add_f32_e32 v55, v53, v59
	v_fmac_f32_e32 v17, -0.5, v55
	v_mov_b32_e32 v55, v17
	v_fmac_f32_e32 v55, 0xbf737871, v16
	v_fmac_f32_e32 v17, 0x3f737871, v16
	;; [unrolled: 1-line block ×4, first 2 shown]
	v_add_f32_e32 v15, v7, v18
	v_sub_f32_e32 v53, v54, v53
	v_sub_f32_e32 v54, v56, v59
	v_add_f32_e32 v15, v15, v45
	v_add_f32_e32 v53, v53, v54
	v_add_f32_e32 v15, v15, v46
	v_fmac_f32_e32 v55, 0x3e9e377a, v53
	v_fmac_f32_e32 v17, 0x3e9e377a, v53
	v_add_f32_e32 v53, v15, v47
	v_add_f32_e32 v15, v45, v46
	v_fma_f32 v15, -0.5, v15, v7
	v_sub_f32_e32 v16, v44, v52
	v_mov_b32_e32 v44, v15
	v_fmac_f32_e32 v44, 0x3f737871, v16
	v_sub_f32_e32 v43, v43, v51
	v_sub_f32_e32 v51, v18, v45
	;; [unrolled: 1-line block ×3, first 2 shown]
	v_fmac_f32_e32 v15, 0xbf737871, v16
	v_fmac_f32_e32 v44, 0x3f167918, v43
	v_add_f32_e32 v51, v51, v52
	v_fmac_f32_e32 v15, 0xbf167918, v43
	v_fmac_f32_e32 v44, 0x3e9e377a, v51
	;; [unrolled: 1-line block ×3, first 2 shown]
	v_add_f32_e32 v51, v18, v47
	v_fma_f32 v7, -0.5, v51, v7
	v_mov_b32_e32 v51, v7
	v_fmac_f32_e32 v51, 0xbf737871, v43
	v_sub_f32_e32 v18, v45, v18
	v_sub_f32_e32 v45, v46, v47
	v_fmac_f32_e32 v7, 0x3f737871, v43
	v_fmac_f32_e32 v51, 0x3f167918, v16
	v_add_f32_e32 v18, v18, v45
	v_fmac_f32_e32 v7, 0xbf167918, v16
	v_fmac_f32_e32 v51, 0x3e9e377a, v18
	;; [unrolled: 1-line block ×3, first 2 shown]
	v_add_f32_e32 v18, v39, v40
	v_fma_f32 v18, -0.5, v18, v8
	v_sub_f32_e32 v43, v19, v48
	v_mov_b32_e32 v19, v18
	v_fmac_f32_e32 v19, 0x3f737871, v43
	v_sub_f32_e32 v42, v42, v20
	v_sub_f32_e32 v20, v38, v39
	;; [unrolled: 1-line block ×3, first 2 shown]
	v_fmac_f32_e32 v18, 0xbf737871, v43
	v_fmac_f32_e32 v19, 0x3f167918, v42
	v_add_f32_e32 v20, v20, v45
	v_fmac_f32_e32 v18, 0xbf167918, v42
	v_fmac_f32_e32 v19, 0x3e9e377a, v20
	;; [unrolled: 1-line block ×3, first 2 shown]
	v_add_f32_e32 v20, v38, v41
	v_add_f32_e32 v16, v8, v38
	v_fmac_f32_e32 v8, -0.5, v20
	v_add_f32_e32 v11, v11, v66
	v_mov_b32_e32 v20, v8
	v_add_f32_e32 v11, v11, v68
	v_add_f32_e32 v16, v16, v39
	v_fmac_f32_e32 v20, 0xbf737871, v42
	v_sub_f32_e32 v38, v39, v38
	v_sub_f32_e32 v39, v40, v41
	v_fmac_f32_e32 v8, 0x3f737871, v42
	v_add_f32_e32 v11, v11, v70
	v_add_f32_e32 v16, v16, v40
	v_fmac_f32_e32 v20, 0x3f167918, v43
	v_add_f32_e32 v38, v38, v39
	v_fmac_f32_e32 v8, 0xbf167918, v43
	;; [unrolled: 2-line block ×3, first 2 shown]
	v_fmac_f32_e32 v8, 0x3e9e377a, v38
	s_waitcnt lgkmcnt(0)
	; wave barrier
	s_waitcnt lgkmcnt(0)
	ds_write2_b32 v5, v11, v36 offset1:36
	ds_write2_b32 v5, v67, v62 offset0:72 offset1:108
	ds_write_b32 v5, v35 offset:576
	ds_write2_b32 v72, v37, v57 offset1:36
	ds_write2_b32 v72, v55, v17 offset0:72 offset1:108
	ds_write_b32 v72, v61 offset:576
	;; [unrolled: 3-line block ×4, first 2 shown]
	v_add_u32_e32 v5, 0x400, v65
	s_waitcnt lgkmcnt(0)
	; wave barrier
	s_waitcnt lgkmcnt(0)
	ds_read2_b32 v[35:36], v65 offset1:63
	ds_read2_b32 v[41:42], v65 offset0:180 offset1:243
	ds_read2_b32 v[37:38], v5 offset0:104 offset1:167
	v_add_u32_e32 v5, 0x800, v65
	ds_read2_b32 v[43:44], v5 offset0:28 offset1:91
	v_add_u32_e32 v5, 0xa00, v65
	;; [unrolled: 2-line block ×4, first 2 shown]
	ds_read2_b32 v[47:48], v5 offset0:56 offset1:119
	s_and_saveexec_b64 s[4:5], vcc
	s_cbranch_execz .LBB0_33
; %bb.32:
	v_add_u32_e32 v5, 0x100, v65
	ds_read2_b32 v[15:16], v5 offset0:62 offset1:242
	v_add_u32_e32 v5, 0x700, v65
	ds_read2_b32 v[19:20], v5 offset0:38 offset1:218
	;; [unrolled: 2-line block ×3, first 2 shown]
	ds_read_b32 v50, v65 offset:4824
	s_waitcnt lgkmcnt(1)
	v_mov_b32_e32 v8, v17
.LBB0_33:
	s_or_b64 exec, exec, s[4:5]
	s_and_saveexec_b64 s[4:5], s[0:1]
	s_cbranch_execz .LBB0_36
; %bb.34:
	v_mul_u32_u24_e32 v0, 6, v0
	v_lshlrev_b32_e32 v0, 3, v0
	global_load_dwordx4 v[51:54], v0, s[8:9] offset:1424
	global_load_dwordx4 v[55:58], v0, s[8:9] offset:1456
	;; [unrolled: 1-line block ×3, first 2 shown]
	v_mul_u32_u24_e32 v7, 6, v63
	v_lshlrev_b32_e32 v7, 3, v7
	global_load_dwordx4 v[65:68], v7, s[8:9] offset:1424
	global_load_dwordx4 v[69:72], v7, s[8:9] offset:1456
	;; [unrolled: 1-line block ×3, first 2 shown]
	v_mul_lo_u32 v0, s3, v3
	v_mul_lo_u32 v5, s2, v4
	v_mad_u64_u32 v[3:4], s[0:1], s2, v3, 0
	s_mov_b32 s2, 0x3eae86e6
	s_mov_b32 s3, 0xbf5ff5aa
	v_add3_u32 v4, v4, v5, v0
	s_mov_b32 s4, 0xbf3bfb3b
	s_mov_b32 s5, 0x3f3bfb3b
	;; [unrolled: 1-line block ×3, first 2 shown]
	s_movk_i32 s7, 0xb4
	v_lshlrev_b64 v[3:4], 3, v[3:4]
	v_add_co_u32_e64 v3, s[0:1], s14, v3
	s_waitcnt vmcnt(5) lgkmcnt(5)
	v_mul_f32_e32 v0, v42, v52
	s_waitcnt vmcnt(4) lgkmcnt(0)
	v_mul_f32_e32 v5, v48, v58
	s_waitcnt vmcnt(3)
	v_mul_f32_e32 v7, v46, v62
	v_mul_f32_e32 v11, v44, v60
	;; [unrolled: 1-line block ×10, first 2 shown]
	v_fmac_f32_e32 v0, v32, v51
	v_fmac_f32_e32 v5, v34, v57
	;; [unrolled: 1-line block ×6, first 2 shown]
	v_fma_f32 v24, v48, v57, -v58
	v_fma_f32 v26, v42, v51, -v52
	;; [unrolled: 1-line block ×6, first 2 shown]
	v_sub_f32_e32 v38, v0, v5
	v_sub_f32_e32 v40, v7, v11
	;; [unrolled: 1-line block ×3, first 2 shown]
	v_add_f32_e32 v44, v26, v24
	v_add_f32_e32 v46, v30, v28
	;; [unrolled: 1-line block ×6, first 2 shown]
	v_sub_f32_e32 v11, v26, v24
	v_sub_f32_e32 v17, v30, v28
	;; [unrolled: 1-line block ×5, first 2 shown]
	v_add_f32_e32 v30, v40, v42
	v_sub_f32_e32 v34, v46, v48
	v_add_f32_e32 v40, v44, v48
	v_add_f32_e32 v52, v0, v7
	v_sub_f32_e32 v54, v17, v24
	v_mul_f32_e32 v34, 0x3d64c772, v34
	v_add_f32_e32 v40, v46, v40
	v_sub_f32_e32 v32, v44, v46
	v_sub_f32_e32 v53, v0, v5
	;; [unrolled: 1-line block ×3, first 2 shown]
	v_add_f32_e32 v5, v5, v52
	v_mul_f32_e32 v59, 0x3f08b237, v54
	v_mov_b32_e32 v54, v34
	v_add_f32_e32 v52, v36, v40
	v_mul_f32_e32 v28, 0x3f08b237, v28
	v_add_f32_e32 v30, v38, v30
	v_mul_f32_e32 v56, 0x3f4a47b2, v32
	v_fmac_f32_e32 v54, 0x3f4a47b2, v32
	v_mov_b32_e32 v32, v52
	v_sub_f32_e32 v38, v42, v38
	v_sub_f32_e32 v55, v11, v17
	v_add_f32_e32 v17, v17, v24
	v_mul_f32_e32 v57, 0x3d64c772, v51
	v_mov_b32_e32 v77, v28
	v_add_f32_e32 v51, v22, v5
	v_fmac_f32_e32 v32, 0xbf955555, v40
	v_mul_f32_e32 v40, 0xbf5ff5aa, v38
	v_mul_f32_e32 v46, 0x3f4a47b2, v53
	v_add_f32_e32 v17, v11, v17
	v_fmac_f32_e32 v77, 0xbeae86e6, v26
	v_mov_b32_e32 v60, v51
	v_fma_f32 v26, v26, s2, -v40
	v_sub_f32_e32 v40, v48, v44
	v_sub_f32_e32 v0, v7, v0
	;; [unrolled: 1-line block ×3, first 2 shown]
	v_mov_b32_e32 v36, v57
	v_mov_b32_e32 v22, v59
	v_fmac_f32_e32 v60, 0xbf955555, v5
	v_fma_f32 v42, v40, s4, -v56
	v_fma_f32 v7, v0, s4, -v46
	v_mul_f32_e32 v24, 0xbf5ff5aa, v11
	v_fma_f32 v34, v40, s5, -v34
	v_fma_f32 v28, v38, s3, -v28
	;; [unrolled: 1-line block ×4, first 2 shown]
	v_fmac_f32_e32 v36, 0x3f4a47b2, v53
	v_fmac_f32_e32 v22, 0xbeae86e6, v55
	;; [unrolled: 1-line block ×3, first 2 shown]
	v_add_f32_e32 v5, v54, v32
	v_add_f32_e32 v42, v42, v32
	v_fma_f32 v24, v55, s2, -v24
	v_add_f32_e32 v32, v34, v32
	v_fmac_f32_e32 v28, 0xbee1c552, v30
	v_fmac_f32_e32 v11, 0xbee1c552, v17
	v_add_f32_e32 v0, v0, v60
	v_fmac_f32_e32 v22, 0xbee1c552, v17
	v_add_f32_e32 v36, v36, v60
	v_add_f32_e32 v54, v77, v5
	v_fmac_f32_e32 v26, 0xbee1c552, v30
	v_add_f32_e32 v7, v7, v60
	v_fmac_f32_e32 v24, 0xbee1c552, v17
	v_sub_f32_e32 v58, v32, v28
	v_add_f32_e32 v57, v11, v0
	v_add_f32_e32 v60, v28, v32
	v_sub_f32_e32 v59, v0, v11
	v_sub_f32_e32 v78, v5, v77
	s_waitcnt vmcnt(2)
	v_mul_f32_e32 v0, v41, v66
	s_waitcnt vmcnt(1)
	v_mul_f32_e32 v5, v47, v72
	;; [unrolled: 2-line block ×3, first 2 shown]
	v_mul_f32_e32 v17, v43, v74
	v_mul_f32_e32 v28, v37, v68
	v_mul_f32_e32 v30, v39, v70
	v_fmac_f32_e32 v0, v31, v65
	v_fmac_f32_e32 v5, v33, v71
	;; [unrolled: 1-line block ×6, first 2 shown]
	v_sub_f32_e32 v53, v36, v22
	v_sub_f32_e32 v55, v7, v24
	v_add_f32_e32 v61, v24, v7
	v_add_f32_e32 v77, v22, v36
	v_sub_f32_e32 v7, v0, v5
	v_sub_f32_e32 v22, v11, v17
	;; [unrolled: 1-line block ×3, first 2 shown]
	v_add_f32_e32 v56, v26, v42
	v_sub_f32_e32 v62, v42, v26
	v_sub_f32_e32 v26, v7, v22
	;; [unrolled: 1-line block ×3, first 2 shown]
	v_add_f32_e32 v22, v22, v32
	v_add_f32_e32 v38, v7, v22
	v_mul_f32_e32 v22, v33, v72
	v_fma_f32 v33, v47, v71, -v22
	v_mul_f32_e32 v22, v31, v66
	v_add_f32_e32 v0, v0, v5
	v_add_f32_e32 v5, v11, v17
	;; [unrolled: 1-line block ×3, first 2 shown]
	v_fma_f32 v31, v41, v65, -v22
	v_mul_f32_e32 v22, v29, v74
	v_sub_f32_e32 v30, v5, v28
	v_fma_f32 v29, v43, v73, -v22
	v_mul_f32_e32 v22, v27, v76
	v_mul_f32_e32 v25, v25, v70
	;; [unrolled: 1-line block ×4, first 2 shown]
	v_fma_f32 v27, v45, v75, -v22
	v_fma_f32 v25, v39, v69, -v25
	;; [unrolled: 1-line block ×3, first 2 shown]
	v_sub_f32_e32 v11, v0, v5
	v_mov_b32_e32 v43, v30
	v_add_f32_e32 v22, v27, v29
	v_add_f32_e32 v37, v23, v25
	v_mul_f32_e32 v17, 0x3f4a47b2, v11
	v_fmac_f32_e32 v43, 0x3f4a47b2, v11
	v_add_f32_e32 v11, v0, v28
	v_sub_f32_e32 v39, v22, v37
	v_add_f32_e32 v5, v5, v11
	v_add_f32_e32 v40, v31, v33
	v_mul_f32_e32 v39, 0x3d64c772, v39
	v_add_f32_e32 v21, v21, v5
	v_mul_f32_e32 v34, 0x3f08b237, v24
	v_sub_f32_e32 v24, v40, v22
	v_mov_b32_e32 v42, v39
	v_mov_b32_e32 v11, v21
	v_sub_f32_e32 v0, v28, v0
	v_mul_f32_e32 v41, 0x3f4a47b2, v24
	v_fmac_f32_e32 v42, 0x3f4a47b2, v24
	v_add_f32_e32 v24, v40, v37
	v_fmac_f32_e32 v11, 0xbf955555, v5
	v_sub_f32_e32 v27, v27, v29
	v_sub_f32_e32 v25, v23, v25
	v_fma_f32 v17, v0, s4, -v17
	v_fma_f32 v0, v0, s5, -v30
	v_add_f32_e32 v24, v22, v24
	v_add_f32_e32 v5, v43, v11
	v_sub_f32_e32 v23, v27, v25
	v_add_f32_e32 v17, v17, v11
	v_add_f32_e32 v0, v0, v11
	v_lshrrev_b32_e32 v11, 2, v63
	v_add_f32_e32 v22, v35, v24
	v_sub_f32_e32 v31, v31, v33
	v_mul_f32_e32 v33, 0x3f08b237, v23
	v_add_f32_e32 v23, v27, v25
	v_mul_hi_u32 v11, v11, s6
	v_mov_b32_e32 v35, v22
	v_sub_f32_e32 v29, v31, v27
	v_add_f32_e32 v27, v31, v23
	v_sub_f32_e32 v7, v32, v7
	v_sub_f32_e32 v37, v37, v40
	;; [unrolled: 1-line block ×3, first 2 shown]
	v_mov_b32_e32 v36, v34
	v_fmac_f32_e32 v35, 0xbf955555, v24
	v_mov_b32_e32 v43, v33
	v_mul_f32_e32 v32, 0xbf5ff5aa, v7
	v_mul_f32_e32 v25, 0xbf5ff5aa, v31
	v_fma_f32 v28, v37, s5, -v39
	v_fma_f32 v7, v7, s3, -v34
	;; [unrolled: 1-line block ×3, first 2 shown]
	v_fmac_f32_e32 v36, 0xbeae86e6, v26
	v_fmac_f32_e32 v43, 0xbeae86e6, v29
	v_fma_f32 v32, v26, s2, -v32
	v_fma_f32 v26, v37, s4, -v41
	;; [unrolled: 1-line block ×3, first 2 shown]
	v_add_f32_e32 v29, v28, v35
	v_fmac_f32_e32 v7, 0xbee1c552, v38
	v_fmac_f32_e32 v31, 0xbee1c552, v27
	v_fmac_f32_e32 v43, 0xbee1c552, v27
	v_fmac_f32_e32 v41, 0xbee1c552, v27
	v_sub_f32_e32 v28, v29, v7
	v_add_f32_e32 v27, v31, v0
	v_add_f32_e32 v30, v7, v29
	v_sub_f32_e32 v29, v0, v31
	v_lshrrev_b32_e32 v0, 2, v11
	v_mul_lo_u32 v0, v0, s7
	v_sub_f32_e32 v23, v5, v43
	v_add_f32_e32 v33, v43, v5
	v_fmac_f32_e32 v36, 0xbee1c552, v38
	v_sub_u32_e32 v7, v63, v0
	v_mov_b32_e32 v0, s15
	v_addc_co_u32_e64 v5, s[0:1], v0, v4, s[0:1]
	v_lshlrev_b64 v[0:1], 3, v[1:2]
	v_add_f32_e32 v42, v42, v35
	v_add_co_u32_e64 v4, s[0:1], v3, v0
	v_addc_co_u32_e64 v5, s[0:1], v5, v1, s[0:1]
	v_lshlrev_b32_e32 v0, 3, v7
	v_add_co_u32_e64 v2, s[0:1], v4, v0
	v_add_u32_e32 v0, 63, v63
	v_lshrrev_b32_e32 v7, 2, v0
	v_mul_hi_u32 v7, v7, s6
	v_addc_co_u32_e64 v3, s[0:1], 0, v5, s[0:1]
	v_fmac_f32_e32 v32, 0xbee1c552, v38
	v_lshrrev_b32_e32 v7, 2, v7
	v_mul_lo_u32 v11, v7, s7
	v_add_f32_e32 v40, v26, v35
	s_movk_i32 s0, 0x1000
	v_add_f32_e32 v26, v32, v40
	v_sub_f32_e32 v32, v40, v32
	v_add_f32_e32 v31, v41, v17
	v_sub_f32_e32 v34, v42, v36
	global_store_dwordx2 v[2:3], v[21:22], off
	global_store_dwordx2 v[2:3], v[33:34], off offset:1440
	global_store_dwordx2 v[2:3], v[31:32], off offset:2880
	v_add_co_u32_e64 v21, s[0:1], s0, v2
	v_addc_co_u32_e64 v22, s[0:1], 0, v3, s[0:1]
	v_mov_b32_e32 v1, 0
	v_sub_u32_e32 v0, v0, v11
	s_movk_i32 s0, 0x4ec
	v_sub_f32_e32 v25, v17, v41
	global_store_dwordx2 v[21:22], v[29:30], off offset:224
	global_store_dwordx2 v[21:22], v[27:28], off offset:1664
	;; [unrolled: 1-line block ×3, first 2 shown]
	v_mad_u64_u32 v[21:22], s[0:1], v7, s0, v[0:1]
	s_movk_i32 s6, 0x2000
	v_add_co_u32_e64 v2, s[0:1], s6, v2
	v_add_f32_e32 v24, v36, v42
	v_addc_co_u32_e64 v3, s[0:1], 0, v3, s[0:1]
	v_mov_b32_e32 v22, v1
	global_store_dwordx2 v[2:3], v[23:24], off offset:448
	v_lshlrev_b64 v[2:3], 3, v[21:22]
	v_add_u32_e32 v0, 0xb4, v21
	v_add_co_u32_e64 v2, s[0:1], v4, v2
	v_addc_co_u32_e64 v3, s[0:1], v5, v3, s[0:1]
	global_store_dwordx2 v[2:3], v[51:52], off
	v_lshlrev_b64 v[2:3], 3, v[0:1]
	v_add_u32_e32 v0, 0x168, v21
	v_add_co_u32_e64 v2, s[0:1], v4, v2
	v_addc_co_u32_e64 v3, s[0:1], v5, v3, s[0:1]
	global_store_dwordx2 v[2:3], v[77:78], off
	v_lshlrev_b64 v[2:3], 3, v[0:1]
	v_add_u32_e32 v0, 0x21c, v21
	v_add_co_u32_e64 v2, s[0:1], v4, v2
	v_addc_co_u32_e64 v3, s[0:1], v5, v3, s[0:1]
	global_store_dwordx2 v[2:3], v[61:62], off
	v_lshlrev_b64 v[2:3], 3, v[0:1]
	v_add_u32_e32 v0, 0x2d0, v21
	v_add_co_u32_e64 v2, s[0:1], v4, v2
	v_addc_co_u32_e64 v3, s[0:1], v5, v3, s[0:1]
	global_store_dwordx2 v[2:3], v[59:60], off
	v_lshlrev_b64 v[2:3], 3, v[0:1]
	v_add_u32_e32 v0, 0x384, v21
	v_add_co_u32_e64 v2, s[0:1], v4, v2
	v_addc_co_u32_e64 v3, s[0:1], v5, v3, s[0:1]
	global_store_dwordx2 v[2:3], v[57:58], off
	v_lshlrev_b64 v[2:3], 3, v[0:1]
	v_add_u32_e32 v0, 0x438, v21
	v_add_co_u32_e64 v2, s[0:1], v4, v2
	v_addc_co_u32_e64 v3, s[0:1], v5, v3, s[0:1]
	global_store_dwordx2 v[2:3], v[55:56], off
	v_lshlrev_b64 v[2:3], 3, v[0:1]
	v_add_co_u32_e64 v2, s[0:1], v4, v2
	v_addc_co_u32_e64 v3, s[0:1], v5, v3, s[0:1]
	global_store_dwordx2 v[2:3], v[53:54], off
	v_add_u32_e32 v2, 0x7e, v63
	v_cmp_gt_u32_e64 s[0:1], s7, v2
	s_and_b64 exec, exec, s[0:1]
	s_cbranch_execz .LBB0_36
; %bb.35:
	v_subrev_u32_e32 v0, 54, v63
	v_cndmask_b32_e32 v0, v0, v64, vcc
	v_mul_i32_i24_e32 v0, 6, v0
	v_lshlrev_b64 v[21:22], 3, v[0:1]
	v_mov_b32_e32 v0, s9
	v_add_co_u32_e32 v33, vcc, s8, v21
	v_addc_co_u32_e32 v34, vcc, v0, v22, vcc
	global_load_dwordx4 v[21:24], v[33:34], off offset:1424
	global_load_dwordx4 v[25:28], v[33:34], off offset:1440
	;; [unrolled: 1-line block ×3, first 2 shown]
	s_waitcnt vmcnt(2)
	v_mul_f32_e32 v0, v16, v22
	v_mul_f32_e32 v3, v10, v22
	v_mul_f32_e32 v7, v19, v24
	v_mul_f32_e32 v11, v13, v24
	s_waitcnt vmcnt(1)
	v_mul_f32_e32 v17, v20, v26
	v_mul_f32_e32 v22, v14, v26
	v_mul_f32_e32 v24, v8, v28
	v_mul_f32_e32 v26, v6, v28
	;; [unrolled: 5-line block ×3, first 2 shown]
	v_fmac_f32_e32 v0, v10, v21
	v_fma_f32 v3, v16, v21, -v3
	v_fmac_f32_e32 v7, v13, v23
	v_fma_f32 v10, v19, v23, -v11
	;; [unrolled: 2-line block ×6, first 2 shown]
	v_add_f32_e32 v13, v0, v33
	v_add_f32_e32 v14, v3, v12
	v_sub_f32_e32 v3, v3, v12
	v_add_f32_e32 v12, v7, v28
	v_add_f32_e32 v16, v10, v8
	v_sub_f32_e32 v8, v10, v8
	v_add_f32_e32 v10, v17, v24
	v_add_f32_e32 v18, v11, v6
	v_sub_f32_e32 v6, v6, v11
	v_add_f32_e32 v11, v12, v13
	v_add_f32_e32 v19, v16, v14
	v_sub_f32_e32 v20, v12, v13
	v_sub_f32_e32 v21, v16, v14
	v_sub_f32_e32 v13, v13, v10
	;; [unrolled: 1-line block ×4, first 2 shown]
	v_add_f32_e32 v23, v6, v8
	v_sub_f32_e32 v25, v6, v8
	v_sub_f32_e32 v8, v8, v3
	;; [unrolled: 1-line block ×7, first 2 shown]
	v_add_f32_e32 v10, v10, v11
	v_add_f32_e32 v11, v18, v19
	;; [unrolled: 1-line block ×3, first 2 shown]
	v_mul_f32_e32 v13, 0x3f4a47b2, v13
	v_mul_f32_e32 v18, 0x3d64c772, v12
	;; [unrolled: 1-line block ×5, first 2 shown]
	v_add_f32_e32 v22, v17, v7
	v_sub_f32_e32 v24, v17, v7
	v_sub_f32_e32 v27, v7, v0
	v_add_f32_e32 v6, v9, v10
	v_add_f32_e32 v7, v15, v11
	v_fma_f32 v9, v20, s5, -v18
	v_fma_f32 v15, v21, s5, -v19
	;; [unrolled: 1-line block ×4, first 2 shown]
	v_fmac_f32_e32 v23, 0xbeae86e6, v26
	v_fma_f32 v20, v26, s2, -v25
	v_fmac_f32_e32 v23, 0xbee1c552, v3
	v_fmac_f32_e32 v19, 0xbee1c552, v3
	;; [unrolled: 1-line block ×3, first 2 shown]
	v_mov_b32_e32 v3, v1
	v_lshlrev_b64 v[2:3], 3, v[2:3]
	v_sub_f32_e32 v17, v0, v17
	v_add_f32_e32 v0, v22, v0
	v_mul_f32_e32 v14, 0x3f4a47b2, v14
	v_mul_f32_e32 v22, 0x3f08b237, v24
	;; [unrolled: 1-line block ×3, first 2 shown]
	v_fmac_f32_e32 v13, 0x3d64c772, v12
	v_fma_f32 v12, v21, s4, -v14
	v_fmac_f32_e32 v14, 0x3d64c772, v16
	v_fma_f32 v16, v27, s3, -v22
	;; [unrolled: 2-line block ×3, first 2 shown]
	v_add_co_u32_e32 v2, vcc, v4, v2
	v_fmac_f32_e32 v22, 0xbee1c552, v0
	v_fmac_f32_e32 v16, 0xbee1c552, v0
	;; [unrolled: 1-line block ×3, first 2 shown]
	v_addc_co_u32_e32 v3, vcc, v5, v3, vcc
	v_add_u32_e32 v0, 0x132, v63
	v_mov_b32_e32 v8, v6
	v_mov_b32_e32 v21, v7
	global_store_dwordx2 v[2:3], v[6:7], off
	v_lshlrev_b64 v[2:3], 3, v[0:1]
	v_fmac_f32_e32 v8, 0xbf955555, v10
	v_fmac_f32_e32 v21, 0xbf955555, v11
	v_add_f32_e32 v24, v13, v8
	v_add_f32_e32 v25, v14, v21
	v_add_co_u32_e32 v2, vcc, v4, v2
	v_add_f32_e32 v14, v9, v8
	v_add_f32_e32 v18, v18, v8
	;; [unrolled: 1-line block ×3, first 2 shown]
	v_sub_f32_e32 v9, v25, v22
	v_addc_co_u32_e32 v3, vcc, v5, v3, vcc
	v_add_u32_e32 v0, 0x1e6, v63
	global_store_dwordx2 v[2:3], v[8:9], off
	v_lshlrev_b64 v[2:3], 3, v[0:1]
	v_add_f32_e32 v15, v15, v21
	v_add_f32_e32 v21, v12, v21
	v_add_co_u32_e32 v2, vcc, v4, v2
	v_add_f32_e32 v10, v20, v18
	v_sub_f32_e32 v11, v21, v17
	v_addc_co_u32_e32 v3, vcc, v5, v3, vcc
	v_add_u32_e32 v0, 0x29a, v63
	global_store_dwordx2 v[2:3], v[10:11], off
	v_lshlrev_b64 v[2:3], 3, v[0:1]
	v_sub_f32_e32 v12, v14, v19
	v_add_co_u32_e32 v2, vcc, v4, v2
	v_add_f32_e32 v13, v16, v15
	v_addc_co_u32_e32 v3, vcc, v5, v3, vcc
	v_add_u32_e32 v0, 0x34e, v63
	global_store_dwordx2 v[2:3], v[12:13], off
	v_lshlrev_b64 v[2:3], 3, v[0:1]
	v_add_f32_e32 v14, v19, v14
	v_add_co_u32_e32 v2, vcc, v4, v2
	v_sub_f32_e32 v15, v15, v16
	v_addc_co_u32_e32 v3, vcc, v5, v3, vcc
	v_add_u32_e32 v0, 0x402, v63
	global_store_dwordx2 v[2:3], v[14:15], off
	v_lshlrev_b64 v[2:3], 3, v[0:1]
	v_add_u32_e32 v0, 0x4b6, v63
	v_add_co_u32_e32 v2, vcc, v4, v2
	v_lshlrev_b64 v[0:1], 3, v[0:1]
	v_addc_co_u32_e32 v3, vcc, v5, v3, vcc
	v_add_co_u32_e32 v0, vcc, v4, v0
	v_sub_f32_e32 v16, v18, v20
	v_add_f32_e32 v17, v17, v21
	v_sub_f32_e32 v18, v24, v23
	v_add_f32_e32 v19, v22, v25
	v_addc_co_u32_e32 v1, vcc, v5, v1, vcc
	global_store_dwordx2 v[2:3], v[16:17], off
	global_store_dwordx2 v[0:1], v[18:19], off
.LBB0_36:
	s_endpgm
	.section	.rodata,"a",@progbits
	.p2align	6, 0x0
	.amdhsa_kernel fft_rtc_back_len1260_factors_2_2_3_3_5_7_wgs_63_tpt_63_halfLds_sp_op_CI_CI_unitstride_sbrr_dirReg
		.amdhsa_group_segment_fixed_size 0
		.amdhsa_private_segment_fixed_size 0
		.amdhsa_kernarg_size 104
		.amdhsa_user_sgpr_count 6
		.amdhsa_user_sgpr_private_segment_buffer 1
		.amdhsa_user_sgpr_dispatch_ptr 0
		.amdhsa_user_sgpr_queue_ptr 0
		.amdhsa_user_sgpr_kernarg_segment_ptr 1
		.amdhsa_user_sgpr_dispatch_id 0
		.amdhsa_user_sgpr_flat_scratch_init 0
		.amdhsa_user_sgpr_private_segment_size 0
		.amdhsa_uses_dynamic_stack 0
		.amdhsa_system_sgpr_private_segment_wavefront_offset 0
		.amdhsa_system_sgpr_workgroup_id_x 1
		.amdhsa_system_sgpr_workgroup_id_y 0
		.amdhsa_system_sgpr_workgroup_id_z 0
		.amdhsa_system_sgpr_workgroup_info 0
		.amdhsa_system_vgpr_workitem_id 0
		.amdhsa_next_free_vgpr 112
		.amdhsa_next_free_sgpr 28
		.amdhsa_reserve_vcc 1
		.amdhsa_reserve_flat_scratch 0
		.amdhsa_float_round_mode_32 0
		.amdhsa_float_round_mode_16_64 0
		.amdhsa_float_denorm_mode_32 3
		.amdhsa_float_denorm_mode_16_64 3
		.amdhsa_dx10_clamp 1
		.amdhsa_ieee_mode 1
		.amdhsa_fp16_overflow 0
		.amdhsa_exception_fp_ieee_invalid_op 0
		.amdhsa_exception_fp_denorm_src 0
		.amdhsa_exception_fp_ieee_div_zero 0
		.amdhsa_exception_fp_ieee_overflow 0
		.amdhsa_exception_fp_ieee_underflow 0
		.amdhsa_exception_fp_ieee_inexact 0
		.amdhsa_exception_int_div_zero 0
	.end_amdhsa_kernel
	.text
.Lfunc_end0:
	.size	fft_rtc_back_len1260_factors_2_2_3_3_5_7_wgs_63_tpt_63_halfLds_sp_op_CI_CI_unitstride_sbrr_dirReg, .Lfunc_end0-fft_rtc_back_len1260_factors_2_2_3_3_5_7_wgs_63_tpt_63_halfLds_sp_op_CI_CI_unitstride_sbrr_dirReg
                                        ; -- End function
	.section	.AMDGPU.csdata,"",@progbits
; Kernel info:
; codeLenInByte = 12500
; NumSgprs: 32
; NumVgprs: 112
; ScratchSize: 0
; MemoryBound: 0
; FloatMode: 240
; IeeeMode: 1
; LDSByteSize: 0 bytes/workgroup (compile time only)
; SGPRBlocks: 3
; VGPRBlocks: 27
; NumSGPRsForWavesPerEU: 32
; NumVGPRsForWavesPerEU: 112
; Occupancy: 2
; WaveLimiterHint : 1
; COMPUTE_PGM_RSRC2:SCRATCH_EN: 0
; COMPUTE_PGM_RSRC2:USER_SGPR: 6
; COMPUTE_PGM_RSRC2:TRAP_HANDLER: 0
; COMPUTE_PGM_RSRC2:TGID_X_EN: 1
; COMPUTE_PGM_RSRC2:TGID_Y_EN: 0
; COMPUTE_PGM_RSRC2:TGID_Z_EN: 0
; COMPUTE_PGM_RSRC2:TIDIG_COMP_CNT: 0
	.type	__hip_cuid_7b7c6ff53f5c5772,@object ; @__hip_cuid_7b7c6ff53f5c5772
	.section	.bss,"aw",@nobits
	.globl	__hip_cuid_7b7c6ff53f5c5772
__hip_cuid_7b7c6ff53f5c5772:
	.byte	0                               ; 0x0
	.size	__hip_cuid_7b7c6ff53f5c5772, 1

	.ident	"AMD clang version 19.0.0git (https://github.com/RadeonOpenCompute/llvm-project roc-6.4.0 25133 c7fe45cf4b819c5991fe208aaa96edf142730f1d)"
	.section	".note.GNU-stack","",@progbits
	.addrsig
	.addrsig_sym __hip_cuid_7b7c6ff53f5c5772
	.amdgpu_metadata
---
amdhsa.kernels:
  - .args:
      - .actual_access:  read_only
        .address_space:  global
        .offset:         0
        .size:           8
        .value_kind:     global_buffer
      - .offset:         8
        .size:           8
        .value_kind:     by_value
      - .actual_access:  read_only
        .address_space:  global
        .offset:         16
        .size:           8
        .value_kind:     global_buffer
      - .actual_access:  read_only
        .address_space:  global
        .offset:         24
        .size:           8
        .value_kind:     global_buffer
      - .actual_access:  read_only
        .address_space:  global
        .offset:         32
        .size:           8
        .value_kind:     global_buffer
      - .offset:         40
        .size:           8
        .value_kind:     by_value
      - .actual_access:  read_only
        .address_space:  global
        .offset:         48
        .size:           8
        .value_kind:     global_buffer
      - .actual_access:  read_only
        .address_space:  global
        .offset:         56
        .size:           8
        .value_kind:     global_buffer
      - .offset:         64
        .size:           4
        .value_kind:     by_value
      - .actual_access:  read_only
        .address_space:  global
        .offset:         72
        .size:           8
        .value_kind:     global_buffer
      - .actual_access:  read_only
        .address_space:  global
        .offset:         80
        .size:           8
        .value_kind:     global_buffer
      - .actual_access:  read_only
        .address_space:  global
        .offset:         88
        .size:           8
        .value_kind:     global_buffer
      - .actual_access:  write_only
        .address_space:  global
        .offset:         96
        .size:           8
        .value_kind:     global_buffer
    .group_segment_fixed_size: 0
    .kernarg_segment_align: 8
    .kernarg_segment_size: 104
    .language:       OpenCL C
    .language_version:
      - 2
      - 0
    .max_flat_workgroup_size: 63
    .name:           fft_rtc_back_len1260_factors_2_2_3_3_5_7_wgs_63_tpt_63_halfLds_sp_op_CI_CI_unitstride_sbrr_dirReg
    .private_segment_fixed_size: 0
    .sgpr_count:     32
    .sgpr_spill_count: 0
    .symbol:         fft_rtc_back_len1260_factors_2_2_3_3_5_7_wgs_63_tpt_63_halfLds_sp_op_CI_CI_unitstride_sbrr_dirReg.kd
    .uniform_work_group_size: 1
    .uses_dynamic_stack: false
    .vgpr_count:     112
    .vgpr_spill_count: 0
    .wavefront_size: 64
amdhsa.target:   amdgcn-amd-amdhsa--gfx906
amdhsa.version:
  - 1
  - 2
...

	.end_amdgpu_metadata
